;; amdgpu-corpus repo=ROCm/aiter kind=harvested arch=n/a opt=n/a

/root/src/amdgpu-assembly/repos/ROCm__aiter/hsa/gfx950/fmoe_2stages/fmoe_stage1_bf16_pertokenFp8_g1u1_16x128_4tg_pf2.co:	file format elf64-amdgpu

Disassembly of section .text:

0000000000002a00 <_ZN5aiter48fmoe_stage1_bf16_pertokenFp8_g1u1_16x128_4tg_pf2E>:
	s_and_b32 s1, s1, 0xffff                                   // 000000002A00: 8601FF01 0000FFFF
	s_load_dwordx2 s[8:9], s[0:1], 0x0                         // 000000002A08: C0060200 00000000
	s_load_dwordx2 s[20:21], s[0:1], 0x10                      // 000000002A10: C0060500 00000010
	s_load_dwordx2 s[24:25], s[0:1], 0x20                      // 000000002A18: C0060600 00000020
	s_load_dwordx2 s[48:49], s[0:1], 0x30                      // 000000002A20: C0060C00 00000030
	s_load_dwordx2 s[28:29], s[0:1], 0x40                      // 000000002A28: C0060700 00000040
	s_load_dwordx2 s[32:33], s[0:1], 0x50                      // 000000002A30: C0060800 00000050
	s_load_dwordx2 s[36:37], s[0:1], 0x60                      // 000000002A38: C0060900 00000060
	s_load_dwordx2 s[12:13], s[0:1], 0x70                      // 000000002A40: C0060300 00000070
	s_load_dwordx2 s[44:45], s[0:1], 0x80                      // 000000002A48: C0060B00 00000080
	s_mov_b32 s89, 0                                           // 000000002A50: BED90080
	s_load_dword s64, s[0:1], 0x90                             // 000000002A54: C0021000 00000090
	s_load_dword s65, s[0:1], 0xa0                             // 000000002A5C: C0021040 000000A0
	s_load_dword s66, s[0:1], 0xb0                             // 000000002A64: C0021080 000000B0
	s_load_dword s67, s[0:1], 0xc0                             // 000000002A6C: C00210C0 000000C0
	s_load_dword s68, s[0:1], 0xd0                             // 000000002A74: C0021100 000000D0
	s_load_dword s69, s[0:1], 0xe0                             // 000000002A7C: C0021140 000000E0
	s_load_dword s71, s[0:1], 0xf0                             // 000000002A84: C00211C0 000000F0
	s_load_dword s72, s[0:1], 0x100                            // 000000002A8C: C0021200 00000100
	s_load_dword s74, s[0:1], 0x110                            // 000000002A94: C0021280 00000110
	s_load_dword s76, s[0:1], 0x120                            // 000000002A9C: C0021300 00000120
	s_load_dword s56, s[0:1], 0x130                            // 000000002AA4: C0020E00 00000130
	s_load_dword s88, s[0:1], 0x140                            // 000000002AAC: C0021600 00000140
	s_load_dword s89, s[0:1], 0x150                            // 000000002AB4: C0021640 00000150
	v_lshrrev_b32_e32 v1, 10, v0                               // 000000002ABC: 2002008A
	v_lshrrev_b32_e32 v2, 10, v1                               // 000000002AC0: 2004028A
	v_and_b32_e32 v2, 0x3ff, v2                                // 000000002AC4: 260404FF 000003FF
	v_and_b32_e32 v1, 0x3ff, v1                                // 000000002ACC: 260202FF 000003FF
	v_and_b32_e32 v0, 0x3ff, v0                                // 000000002AD4: 260000FF 000003FF
	v_lshrrev_b32_e32 v3, 6, v0                                // 000000002ADC: 20060086
	v_and_b32_e32 v0, 63, v0                                   // 000000002AE0: 260000BF
	s_mov_b32 s2, s2                                           // 000000002AE4: BE820002
	s_mov_b32 s3, s3                                           // 000000002AE8: BE830003
	s_mov_b32 s4, s4                                           // 000000002AEC: BE840004
	v_readfirstlane_b32 s7, v3                                 // 000000002AF0: 7E0E0503
	s_waitcnt lgkmcnt(0)                                       // 000000002AF4: BF8CC07F
	s_and_b32 s49, s49, 0xffff                                 // 000000002AF8: 8631FF31 0000FFFF
	s_load_dword s48, s[48:49], 0x0                            // 000000002B00: C0020C18 00000000
	s_and_b32 s45, s45, 0xffff                                 // 000000002B08: 862DFF2D 0000FFFF
	s_and_b32 s9, s9, 0xffff                                   // 000000002B10: 8609FF09 0000FFFF
	s_mul_i32 s60, s66, s68                                    // 000000002B18: 923C4442
	s_mul_i32 s61, s66, 4                                      // 000000002B1C: 923D8442
	s_mov_b32 s22, s60                                         // 000000002B20: BE96003C
	s_mov_b32 s26, -16                                         // 000000002B24: BE9A00D0
	s_mov_b32 s30, s61                                         // 000000002B28: BE9E003D
	s_mov_b32 s14, 64                                          // 000000002B2C: BE8E00C0
	s_mov_b32 s38, -16                                         // 000000002B30: BEA600D0
	s_mov_b32 s10, -16                                         // 000000002B34: BE8A00D0
	s_mov_b32 s34, 0x200                                       // 000000002B38: BEA200FF 00000200
	s_mov_b32 s23, 0x20000                                     // 000000002B40: BE9700FF 00020000
	s_mov_b32 s27, 0x20000                                     // 000000002B48: BE9B00FF 00020000
	s_mov_b32 s31, 0x20000                                     // 000000002B50: BE9F00FF 00020000
	s_mov_b32 s35, 0x20000                                     // 000000002B58: BEA300FF 00020000
	s_mov_b32 s15, 0x20000                                     // 000000002B60: BE8F00FF 00020000
	s_mov_b32 s39, 0x20000                                     // 000000002B68: BEA700FF 00020000
	s_mov_b32 s11, 0x20000                                     // 000000002B70: BE8B00FF 00020000
	s_and_b32 s21, s21, 0xffff                                 // 000000002B78: 8615FF15 0000FFFF
	s_and_b32 s25, s25, 0xffff                                 // 000000002B80: 8619FF19 0000FFFF
	s_and_b32 s29, s29, 0xffff                                 // 000000002B88: 861DFF1D 0000FFFF
	s_and_b32 s33, s33, 0xffff                                 // 000000002B90: 8621FF21 0000FFFF
	s_and_b32 s13, s13, 0xffff                                 // 000000002B98: 860DFF0D 0000FFFF
	s_and_b32 s37, s37, 0xffff                                 // 000000002BA0: 8625FF25 0000FFFF
	s_or_b32 s21, s21, 0x40000                                 // 000000002BA8: 8715FF15 00040000
	s_or_b32 s25, s25, 0x40000                                 // 000000002BB0: 8719FF19 00040000
	s_or_b32 s29, s29, 0x40000                                 // 000000002BB8: 871DFF1D 00040000
	s_or_b32 s33, s33, 0x40000                                 // 000000002BC0: 8721FF21 00040000
	s_or_b32 s13, s13, 0x40000                                 // 000000002BC8: 870DFF0D 00040000
	s_or_b32 s37, s37, 0x40000                                 // 000000002BD0: 8725FF25 00040000
	v_accvgpr_write_b32 a47, 0                                 // 000000002BD8: D3D9402F 18000080
	v_mov_b32_e32 v51, 0                                       // 000000002BE0: 7E660280
	s_waitcnt lgkmcnt(0)                                       // 000000002BE4: BF8CC07F
	s_mul_i32 s60, s3, 16                                      // 000000002BE8: 923C9003
	s_cmp_lt_i32 s60, s48                                      // 000000002BEC: BF04303C
	s_cbranch_scc0 label_0813                                  // 000000002BF0: BF840793
	s_mov_b32 s80, 0                                           // 000000002BF4: BED00080
	s_lshr_b32 s81, s64, s88                                   // 000000002BF8: 8F515840
	s_mul_i32 s60, s3, 4                                       // 000000002BFC: 923C8403
	s_add_u32 s44, s60, s44                                    // 000000002C00: 802C2C3C
	s_addc_u32 s45, 0, s45                                     // 000000002C04: 822D2D80
	s_load_dword s5, s[44:45], 0x0                             // 000000002C08: C0020156 00000000
	s_mul_i32 s60, s3, 16                                      // 000000002C10: 923C9003
	s_mul_i32 s60, 4, s60                                      // 000000002C14: 923C3C84
	s_add_u32 s12, s60, s12                                    // 000000002C18: 800C0C3C
	s_addc_u32 s13, 0, s13                                     // 000000002C1C: 820D0D80
	v_and_b32_e32 v4, 15, v0                                   // 000000002C20: 2608008F
	v_lshlrev_b32_e32 v4, 2, v4                                // 000000002C24: 24080882
	buffer_load_dword v28, v4, s[12:15], 0 offen               // 000000002C28: E0501000 80031C04
	v_add_u32_e32 v4, 64, v4                                   // 000000002C30: 680808C0
	s_mul_i32 s60, 4, s7                                       // 000000002C34: 923C0784
	v_lshlrev_b32_e32 v4, 4, v0                                // 000000002C38: 24080084
	v_add_u32_e32 v4, s60, v4                                  // 000000002C3C: 6808083C
	buffer_load_dword v3, v4, s[12:15], 0 offen                // 000000002C40: E0501000 80030304
	v_mov_b32_e32 v36, 0                                       // 000000002C48: 7E480280
	v_mov_b32_e32 v44, 0                                       // 000000002C4C: 7E580280
	v_mov_b32_e32 v37, 0                                       // 000000002C50: 7E4A0280
	v_mov_b32_e32 v45, 0                                       // 000000002C54: 7E5A0280
	v_mov_b32_e32 v38, 0                                       // 000000002C58: 7E4C0280
	v_mov_b32_e32 v46, 0                                       // 000000002C5C: 7E5C0280
	v_mov_b32_e32 v39, 0                                       // 000000002C60: 7E4E0280
	v_mov_b32_e32 v47, 0                                       // 000000002C64: 7E5E0280
	v_mov_b32_e32 v40, 0                                       // 000000002C68: 7E500280
	v_mov_b32_e32 v48, 0                                       // 000000002C6C: 7E600280
	v_mov_b32_e32 v41, 0                                       // 000000002C70: 7E520280
	v_mov_b32_e32 v49, 0                                       // 000000002C74: 7E620280
	v_mov_b32_e32 v42, 0                                       // 000000002C78: 7E540280
	v_mov_b32_e32 v50, 0                                       // 000000002C7C: 7E640280
	v_mov_b32_e32 v43, 0                                       // 000000002C80: 7E560280
	v_mov_b32_e32 v51, 0                                       // 000000002C84: 7E660280
	s_mul_i32 s60, s2, 0x100                                   // 000000002C88: 923CFF02 00000100
	s_cmp_eq_u32 s88, 0                                        // 000000002C90: BF068058
	s_cselect_b32 s61, 1, 2                                    // 000000002C94: 853D8281
	s_mul_i32 s60, s60, s61                                    // 000000002C98: 923C3D3C
	s_mov_b32 s90, s8                                          // 000000002C9C: BEDA0008
	s_mov_b32 s91, s9                                          // 000000002CA0: BEDB0009
	s_add_u32 s8, s60, s8                                      // 000000002CA4: 8008083C
	s_addc_u32 s9, 0, s9                                       // 000000002CA8: 82090980
	v_lshrrev_b32_e32 v4, 4, v0                                // 000000002CAC: 20080084
	v_mul_lo_u32 v20, 34, v4                                   // 000000002CB0: D2850014 000208A2
	v_and_b32_e32 v4, 15, v0                                   // 000000002CB8: 2608008F
	v_mul_lo_u32 v5, 2, v4                                     // 000000002CBC: D2850005 00020882
	v_add_u32_e32 v20, v5, v20                                 // 000000002CC4: 68282905
	s_mul_i32 s60, s7, 0x88                                    // 000000002CC8: 923CFF07 00000088
	v_add_u32_e32 v20, s60, v20                                // 000000002CD0: 6828283C
	v_lshlrev_b32_e32 v20, 2, v20                              // 000000002CD4: 24282882
	v_and_b32_e32 v4, 31, v0                                   // 000000002CD8: 2608009F
	v_lshrrev_b32_e32 v4, 1, v4                                // 000000002CDC: 20080881
	v_mul_lo_u32 v21, 34, v4                                   // 000000002CE0: D2850015 000208A2
	v_lshrrev_b32_e32 v4, 5, v0                                // 000000002CE8: 20080085
	v_mul_lo_u32 v4, 8, v4                                     // 000000002CEC: D2850004 00020888
	v_add_u32_e32 v21, v21, v4                                 // 000000002CF4: 682A0915
	v_and_b32_e32 v5, 1, v0                                    // 000000002CF8: 260A0081
	v_add_u32_e32 v21, v5, v21                                 // 000000002CFC: 682A2B05
	s_mul_i32 s60, s7, 2                                       // 000000002D00: 923C8207
	v_add_u32_e32 v21, s60, v21                                // 000000002D04: 682A2A3C
	v_lshlrev_b32_e32 v21, 2, v21                              // 000000002D08: 242A2A82
	s_mul_i32 s60, s7, 0x220                                   // 000000002D0C: 923CFF07 00000220
	s_add_u32 s48, 0, s60                                      // 000000002D14: 80303C80
	s_add_u32 s49, 0x880, s48                                  // 000000002D18: 803130FF 00000880
	v_lshrrev_b32_e32 v4, 4, v0                                // 000000002D20: 20080084
	v_lshlrev_b32_e32 v5, 2, v4                                // 000000002D24: 240A0882
	v_and_b32_e32 v4, 15, v0                                   // 000000002D28: 2608008F
	v_lshrrev_b32_e32 v6, 2, v4                                // 000000002D2C: 200C0882
	v_lshlrev_b32_e32 v6, 5, v6                                // 000000002D30: 240C0C85
	v_add_u32_e32 v5, v6, v5                                   // 000000002D34: 680A0B06
	v_and_b32_e32 v4, 3, v0                                    // 000000002D38: 26080083
	v_mul_u32_u24_e32 v6, 0x88, v4                             // 000000002D3C: 100C08FF 00000088
	v_add_u32_e32 v5, v6, v5                                   // 000000002D44: 680A0B06
	v_lshlrev_b32_e32 v2, 2, v5                                // 000000002D48: 24040A82
	s_waitcnt lgkmcnt(0)                                       // 000000002D4C: BF8CC07F
	s_mul_i32 s60, s2, 0x80                                    // 000000002D50: 923CFF02 00000080
	s_mul_i32 s60, s60, s69                                    // 000000002D58: 923C453C
	s_mul_i32 s61, s5, s72                                     // 000000002D5C: 923D4805
	s_add_u32 s60, s61, s60                                    // 000000002D60: 803C3C3D
	s_add_u32 s24, s60, s24                                    // 000000002D64: 8018183C
	s_addc_u32 s25, 0, s25                                     // 000000002D68: 82191980
	s_lshr_b32 s60, s64, s88                                   // 000000002D6C: 8F3C5840
	s_mul_i32 s60, s4, s60                                     // 000000002D70: 923C3C04
	s_lshr_b32 s60, s60, 7                                     // 000000002D74: 8F3C873C
	s_mul_i32 s60, s60, 0x800                                  // 000000002D78: 923CFF3C 00000800
	s_add_u32 s24, s60, s24                                    // 000000002D80: 8018183C
	s_addc_u32 s25, 0, s25                                     // 000000002D84: 82191980
	s_lshr_b32 s60, s69, s88                                   // 000000002D88: 8F3C5845
	s_mul_i32 s60, s4, s60                                     // 000000002D8C: 923C3C04
	s_add_u32 s20, s60, s20                                    // 000000002D90: 8014143C
	s_addc_u32 s21, 0, s21                                     // 000000002D94: 82151580
	s_mul_i32 s60, s7, 16                                      // 000000002D98: 923C9007
	s_mul_i32 s60, s60, s69                                    // 000000002D9C: 923C453C
	v_lshlrev_b32_e32 v34, 4, v0                               // 000000002DA0: 24440084
	v_add_u32_e32 v34, s60, v34                                // 000000002DA4: 6844443C
	s_mul_i32 s60, 64, s69                                     // 000000002DA8: 923C45C0
	v_add_u32_e32 v35, s60, v34                                // 000000002DAC: 6846443C
	s_mov_b32 s84, s24                                         // 000000002DB0: BED40018
	s_mov_b32 s85, s25                                         // 000000002DB4: BED50019
	s_mov_b32 s86, s26                                         // 000000002DB8: BED6001A
	s_mov_b32 s87, s27                                         // 000000002DBC: BED7001B
	s_mul_i32 s60, s69, s65                                    // 000000002DC0: 923C4145
	s_add_u32 s84, s60, s84                                    // 000000002DC4: 8054543C
	s_addc_u32 s85, 0, s85                                     // 000000002DC8: 82555580
	v_lshrrev_b32_e32 v4, 4, v0                                // 000000002DCC: 20080084
	v_lshlrev_b32_e32 v5, 2, v4                                // 000000002DD0: 240A0882
	v_and_b32_e32 v4, 15, v0                                   // 000000002DD4: 2608008F
	v_lshrrev_b32_e32 v6, 2, v4                                // 000000002DD8: 200C0882
	v_lshlrev_b32_e32 v6, 6, v6                                // 000000002DDC: 240C0C86
	v_add_u32_e32 v5, v6, v5                                   // 000000002DE0: 680A0B06
	v_and_b32_e32 v4, 3, v0                                    // 000000002DE4: 26080083
	v_add_u32_e32 v5, v4, v5                                   // 000000002DE8: 680A0B04
	v_lshlrev_b32_e32 v22, 2, v5                               // 000000002DEC: 242C0A82
	s_mul_i32 s60, s7, 16                                      // 000000002DF0: 923C9007
	s_mul_i32 s60, s60, 4                                      // 000000002DF4: 923C843C
	v_add_u32_e32 v22, s60, v22                                // 000000002DF8: 682C2C3C
	s_mul_i32 s60, s2, 0x80                                    // 000000002DFC: 923CFF02 00000080
	s_mul_i32 s60, s60, 4                                      // 000000002E04: 923C843C
	s_mul_i32 s61, s5, s74                                     // 000000002E08: 923D4A05
	s_add_u32 s61, s61, s60                                    // 000000002E0C: 803D3C3D
	s_add_u32 s32, s61, s32                                    // 000000002E10: 8020203D
	s_addc_u32 s33, 0, s33                                     // 000000002E14: 82212180
	s_mov_b32 s57, 0x80                                        // 000000002E18: BEB900FF 00000080
	s_mov_b32 s58, 0x800                                       // 000000002E20: BEBA00FF 00000800
	s_mov_b32 s83, s58                                         // 000000002E28: BED3003A
	s_mov_b32 s52, 0x7060302                                   // 000000002E2C: BEB400FF 07060302
	s_mov_b32 s53, 0x400                                       // 000000002E34: BEB500FF 00000400
	s_mov_b32 s54, 0x40100                                     // 000000002E3C: BEB600FF 00040100
	s_mov_b32 s55, 0x4020100                                   // 000000002E44: BEB700FF 04020100
	s_mov_b32 s6, 0x3fb8aa3b                                   // 000000002E4C: BE8600FF 3FB8AA3B
	s_mov_b32 s78, 0xbd92220c                                  // 000000002E54: BECE00FF BD92220C
	s_mov_b32 s79, 0xbd92220c                                  // 000000002E5C: BECF00FF BD92220C
	s_mov_b32 m0, s48                                          // 000000002E64: BEFC0030
	v_mov_b32_e32 v1, 0xbfcc4231                               // 000000002E68: 7E0202FF BFCC4231
	v_mov_b32_e32 v17, 0xffff0000                              // 000000002E70: 7E2202FF FFFF0000
	v_mov_b32_e32 v18, 0x7fff0000                              // 000000002E78: 7E2402FF 7FFF0000
	v_mov_b32_e32 v19, 0x7fff                                  // 000000002E80: 7E2602FF 00007FFF
	s_waitcnt vmcnt(0) expcnt(0) lgkmcnt(0)                    // 000000002E88: BF8C0000
	v_lshrrev_b32_e32 v4, 5, v0                                // 000000002E8C: 20080085
	v_xor_b32_e32 v5, 1, v4                                    // 000000002E90: 2A0A0881
	v_readlane_b32 s82, v3, 0                                  // 000000002E94: D2890052 00010103
	s_and_b32 s82, s82, 0xffffff                               // 000000002E9C: 8652FF52 00FFFFFF
	v_mul_lo_u32 v6, v5, s82                                   // 000000002EA4: D2850006 0000A505
	v_readlane_b32 s82, v3, 1                                  // 000000002EAC: D2890052 00010303
	s_and_b32 s82, s82, 0xffffff                               // 000000002EB4: 8652FF52 00FFFFFF
	v_mul_lo_u32 v7, v4, s82                                   // 000000002EBC: D2850007 0000A504
	v_add_u32_e32 v32, v6, v7                                  // 000000002EC4: 68400F06
	v_mul_lo_u32 v32, v32, s68                                 // 000000002EC8: D2850020 00008920
	v_readlane_b32 s82, v3, 2                                  // 000000002ED0: D2890052 00010503
	s_and_b32 s82, s82, 0xffffff                               // 000000002ED8: 8652FF52 00FFFFFF
	v_mul_lo_u32 v6, v5, s82                                   // 000000002EE0: D2850006 0000A505
	v_readlane_b32 s82, v3, 3                                  // 000000002EE8: D2890052 00010703
	s_and_b32 s82, s82, 0xffffff                               // 000000002EF0: 8652FF52 00FFFFFF
	v_mul_lo_u32 v7, v4, s82                                   // 000000002EF8: D2850007 0000A504
	v_add_u32_e32 v33, v6, v7                                  // 000000002F00: 68420F06
	v_mul_lo_u32 v33, v33, s68                                 // 000000002F04: D2850021 00008921
	v_and_b32_e32 v4, 31, v0                                   // 000000002F0C: 2608009F
	v_lshlrev_b32_e32 v4, 2, v4                                // 000000002F10: 24080882
	v_add_u32_e32 v32, v32, v4                                 // 000000002F14: 68400920
	v_add_u32_e32 v33, v33, v4                                 // 000000002F18: 68420921
	v_and_b32_e32 v28, 0xffffff, v28                           // 000000002F1C: 263838FF 00FFFFFF
	v_lshlrev_b32_e32 v28, 2, v28                              // 000000002F24: 24383882
	s_lshl_b32 s3, s66, 2                                      // 000000002F28: 8E038242
	buffer_load_dword v29, v28, s[28:31], 0 offen              // 000000002F2C: E0501000 80071D1C
	buffer_load_dword v24, v22, s[32:35], 0 offen              // 000000002F34: E0501000 80081816
	s_mul_i32 s60, 4, s65                                      // 000000002F3C: 923C4184
	s_add_u32 s32, s60, s32                                    // 000000002F40: 8020203C
	s_addc_u32 s33, 0, s33                                     // 000000002F44: 82212180
	buffer_load_dword v26, v22, s[32:35], 0 offen              // 000000002F48: E0501000 80081A16
	buffer_load_dword v32, s[20:23], 0 offen lds               // 000000002F50: E0511000 80050020
	s_add_u32 m0, 0x100, s48                                   // 000000002F58: 807C30FF 00000100
	buffer_load_dword v33, s[20:23], 0 offen lds               // 000000002F60: E0511000 80050021
	s_add_u32 m0, 0, s49                                       // 000000002F68: 807C3180
	s_add_u32 s20, s57, s20                                    // 000000002F6C: 80141439
	s_addc_u32 s21, 0, s21                                     // 000000002F70: 82151580
	buffer_load_dword v32, s[20:23], 0 offen lds               // 000000002F74: E0511000 80050020
	s_add_u32 m0, 0x100, s49                                   // 000000002F7C: 807C31FF 00000100
	buffer_load_dword v33, s[20:23], 0 offen lds               // 000000002F84: E0511000 80050021
	s_add_u32 m0, 0, s48                                       // 000000002F8C: 807C3080
	s_add_u32 s20, s57, s20                                    // 000000002F90: 80141439
	s_addc_u32 s21, 0, s21                                     // 000000002F94: 82151580
	buffer_load_dwordx4 a[16:19], v34, s[24:27], 0 offen       // 000000002F98: E05C1000 80861022
	buffer_load_dwordx4 a[20:23], v34, s[24:27], 0 offen offset:1024// 000000002FA0: E05C1400 80861422
	buffer_load_dwordx4 a[24:27], v35, s[24:27], 0 offen       // 000000002FA8: E05C1000 80861823
	buffer_load_dwordx4 a[28:31], v35, s[24:27], 0 offen offset:1024// 000000002FB0: E05C1400 80861C23
	s_add_u32 s24, s58, s24                                    // 000000002FB8: 8018183A
	s_addc_u32 s25, 0, s25                                     // 000000002FBC: 82191980
	s_waitcnt vmcnt(6)                                         // 000000002FC0: BF8C0F76
	s_barrier                                                  // 000000002FC4: BF8A0000
	ds_read_b128 a[0:3], v2                                    // 000000002FC8: DBFE0000 00000002
	ds_read_b128 a[4:7], v2 offset:64                          // 000000002FD0: DBFE0040 04000002
	s_cmp_lt_i32 s7, 2                                         // 000000002FD8: BF048207
	s_cbranch_scc0 label_04C7                                  // 000000002FDC: BF84034C

0000000000002fe0 <label_0178>:
	s_waitcnt vmcnt(2) lgkmcnt(0)                              // 000000002FE0: BF8C0072
	s_barrier                                                  // 000000002FE4: BF8A0000
	v_mfma_f32_16x16x32_fp8_fp8 v[36:39], a[16:17], a[0:1], v[36:39]// 000000002FE8: D3F30024 1C920110
	v_mfma_f32_16x16x32_fp8_fp8 v[36:39], a[18:19], a[2:3], v[36:39]// 000000002FF0: D3F30024 1C920512
	buffer_load_dwordx4 a[32:35], v34, s[84:87], 0 offen       // 000000002FF8: E05C1000 80952022
	v_mfma_f32_16x16x32_fp8_fp8 v[36:39], a[20:21], a[4:5], v[36:39]// 000000003000: D3F30024 1C920914
	v_mfma_f32_16x16x32_fp8_fp8 v[36:39], a[22:23], a[6:7], v[36:39]// 000000003008: D3F30024 1C920D16
	s_waitcnt vmcnt(1)                                         // 000000003010: BF8C0F71
	v_mfma_f32_16x16x32_fp8_fp8 v[40:43], a[24:25], a[0:1], v[40:43]// 000000003014: D3F30028 1CA20118
	v_mfma_f32_16x16x32_fp8_fp8 v[40:43], a[26:27], a[2:3], v[40:43]// 00000000301C: D3F30028 1CA2051A
	buffer_load_dwordx4 a[36:39], v34, s[84:87], 0 offen offset:1024// 000000003024: E05C1400 80952422
	s_add_u32 s60, 0x80, s80                                   // 00000000302C: 803C50FF 00000080
	s_cmp_lt_u32 s60, s81                                      // 000000003034: BF0A513C
	s_cselect_b32 s83, s83, 0                                  // 000000003038: 85538053
	v_mfma_f32_16x16x32_fp8_fp8 v[40:43], a[28:29], a[4:5], v[40:43]// 00000000303C: D3F30028 1CA2091C
	v_mfma_f32_16x16x32_fp8_fp8 v[40:43], a[30:31], a[6:7], v[40:43]// 000000003044: D3F30028 1CA20D1E
	buffer_load_dwordx4 a[40:43], v35, s[84:87], 0 offen       // 00000000304C: E05C1000 80952823
	buffer_load_dwordx4 a[44:47], v35, s[84:87], 0 offen offset:1024// 000000003054: E05C1400 80952C23
	buffer_load_dword v32, s[20:23], 0 offen lds               // 00000000305C: E0511000 80050020
	s_add_u32 m0, 0x100, s48                                   // 000000003064: 807C30FF 00000100
	buffer_load_dword v33, s[20:23], 0 offen lds               // 00000000306C: E0511000 80050021
	s_add_u32 m0, 0, s49                                       // 000000003074: 807C3180
	s_waitcnt vmcnt(2)                                         // 000000003078: BF8C0F72
	v_mfma_f32_16x16x32_fp8_fp8 v[44:47], a[32:33], a[0:1], v[44:47]// 00000000307C: D3F3002C 1CB20120
	v_mfma_f32_16x16x32_fp8_fp8 v[44:47], a[34:35], a[2:3], v[44:47]// 000000003084: D3F3002C 1CB20522
	buffer_load_dwordx4 a[16:19], v34, s[24:27], 0 offen       // 00000000308C: E05C1000 80861022
	v_mfma_f32_16x16x32_fp8_fp8 v[44:47], a[36:37], a[4:5], v[44:47]// 000000003094: D3F3002C 1CB20924
	s_add_u32 s60, 0x180, s80                                  // 00000000309C: 803C50FF 00000180
	s_cmp_lt_u32 s60, s81                                      // 0000000030A4: BF0A513C
	s_cselect_b32 s57, s57, 0                                  // 0000000030A8: 85398039
	v_mfma_f32_16x16x32_fp8_fp8 v[44:47], a[38:39], a[6:7], v[44:47]// 0000000030AC: D3F3002C 1CB20D26
	ds_read_b128 a[8:11], v2 offset:2176                       // 0000000030B4: DBFE0880 08000002
	ds_read_b128 a[12:15], v2 offset:2240                      // 0000000030BC: DBFE08C0 0C000002
	s_add_u32 s60, 0x100, s80                                  // 0000000030C4: 803C50FF 00000100
	s_cmp_lt_u32 s60, s81                                      // 0000000030CC: BF0A513C
	s_cselect_b32 s58, s58, 0                                  // 0000000030D0: 853A803A
	v_mfma_f32_16x16x32_fp8_fp8 v[48:51], a[40:41], a[0:1], v[48:51]// 0000000030D4: D3F30030 1CC20128
	v_mfma_f32_16x16x32_fp8_fp8 v[48:51], a[42:43], a[2:3], v[48:51]// 0000000030DC: D3F30030 1CC2052A
	buffer_load_dwordx4 a[20:23], v34, s[24:27], 0 offen offset:1024// 0000000030E4: E05C1400 80861422
	s_add_u32 s20, s57, s20                                    // 0000000030EC: 80141439
	s_addc_u32 s21, 0, s21                                     // 0000000030F0: 82151580
	v_mfma_f32_16x16x32_fp8_fp8 v[48:51], a[44:45], a[4:5], v[48:51]// 0000000030F4: D3F30030 1CC2092C
	s_add_u32 s84, s83, s84                                    // 0000000030FC: 80545453
	s_addc_u32 s85, 0, s85                                     // 000000003100: 82555580
	v_mfma_f32_16x16x32_fp8_fp8 v[48:51], a[46:47], a[6:7], v[48:51]// 000000003104: D3F30030 1CC20D2E
	buffer_load_dwordx4 a[24:27], v35, s[24:27], 0 offen       // 00000000310C: E05C1000 80861823
	buffer_load_dwordx4 a[28:31], v35, s[24:27], 0 offen offset:1024// 000000003114: E05C1400 80861C23
	s_add_u32 s24, s58, s24                                    // 00000000311C: 8018183A
	s_addc_u32 s25, 0, s25                                     // 000000003120: 82191980
	s_addk_i32 s80, 0x80                                       // 000000003124: B7500080
	s_cmp_lt_i32 s80, s81                                      // 000000003128: BF045150
	s_cbranch_scc0 label_0221                                  // 00000000312C: BF840055
	s_waitcnt vmcnt(2) lgkmcnt(0)                              // 000000003130: BF8C0072
	s_barrier                                                  // 000000003134: BF8A0000
	v_mfma_f32_16x16x32_fp8_fp8 v[36:39], a[16:17], a[8:9], v[36:39]// 000000003138: D3F30024 1C921110
	v_mfma_f32_16x16x32_fp8_fp8 v[36:39], a[18:19], a[10:11], v[36:39]// 000000003140: D3F30024 1C921512
	buffer_load_dwordx4 a[32:35], v34, s[84:87], 0 offen       // 000000003148: E05C1000 80952022
	v_mfma_f32_16x16x32_fp8_fp8 v[36:39], a[20:21], a[12:13], v[36:39]// 000000003150: D3F30024 1C921914
	v_mfma_f32_16x16x32_fp8_fp8 v[36:39], a[22:23], a[14:15], v[36:39]// 000000003158: D3F30024 1C921D16
	s_waitcnt vmcnt(1)                                         // 000000003160: BF8C0F71
	v_mfma_f32_16x16x32_fp8_fp8 v[40:43], a[24:25], a[8:9], v[40:43]// 000000003164: D3F30028 1CA21118
	v_mfma_f32_16x16x32_fp8_fp8 v[40:43], a[26:27], a[10:11], v[40:43]// 00000000316C: D3F30028 1CA2151A
	buffer_load_dwordx4 a[36:39], v34, s[84:87], 0 offen offset:1024// 000000003174: E05C1400 80952422
	s_add_u32 s60, 0x80, s80                                   // 00000000317C: 803C50FF 00000080
	s_cmp_lt_u32 s60, s81                                      // 000000003184: BF0A513C
	s_cselect_b32 s83, s83, 0                                  // 000000003188: 85538053
	v_mfma_f32_16x16x32_fp8_fp8 v[40:43], a[28:29], a[12:13], v[40:43]// 00000000318C: D3F30028 1CA2191C
	v_mfma_f32_16x16x32_fp8_fp8 v[40:43], a[30:31], a[14:15], v[40:43]// 000000003194: D3F30028 1CA21D1E
	buffer_load_dwordx4 a[40:43], v35, s[84:87], 0 offen       // 00000000319C: E05C1000 80952823
	buffer_load_dwordx4 a[44:47], v35, s[84:87], 0 offen offset:1024// 0000000031A4: E05C1400 80952C23
	buffer_load_dword v32, s[20:23], 0 offen lds               // 0000000031AC: E0511000 80050020
	s_add_u32 m0, 0x100, s49                                   // 0000000031B4: 807C31FF 00000100
	buffer_load_dword v33, s[20:23], 0 offen lds               // 0000000031BC: E0511000 80050021
	s_add_u32 m0, 0, s48                                       // 0000000031C4: 807C3080
	s_waitcnt vmcnt(2)                                         // 0000000031C8: BF8C0F72
	v_mfma_f32_16x16x32_fp8_fp8 v[44:47], a[32:33], a[8:9], v[44:47]// 0000000031CC: D3F3002C 1CB21120
	v_mfma_f32_16x16x32_fp8_fp8 v[44:47], a[34:35], a[10:11], v[44:47]// 0000000031D4: D3F3002C 1CB21522
	buffer_load_dwordx4 a[16:19], v34, s[24:27], 0 offen       // 0000000031DC: E05C1000 80861022
	v_mfma_f32_16x16x32_fp8_fp8 v[44:47], a[36:37], a[12:13], v[44:47]// 0000000031E4: D3F3002C 1CB21924
	s_add_u32 s60, 0x180, s80                                  // 0000000031EC: 803C50FF 00000180
	s_cmp_lt_u32 s60, s81                                      // 0000000031F4: BF0A513C
	s_cselect_b32 s57, s57, 0                                  // 0000000031F8: 85398039
	v_mfma_f32_16x16x32_fp8_fp8 v[44:47], a[38:39], a[14:15], v[44:47]// 0000000031FC: D3F3002C 1CB21D26
	ds_read_b128 a[0:3], v2                                    // 000000003204: DBFE0000 00000002
	ds_read_b128 a[4:7], v2 offset:64                          // 00000000320C: DBFE0040 04000002
	s_add_u32 s60, 0x100, s80                                  // 000000003214: 803C50FF 00000100
	s_cmp_lt_u32 s60, s81                                      // 00000000321C: BF0A513C
	s_cselect_b32 s58, s58, 0                                  // 000000003220: 853A803A
	v_mfma_f32_16x16x32_fp8_fp8 v[48:51], a[40:41], a[8:9], v[48:51]// 000000003224: D3F30030 1CC21128
	v_mfma_f32_16x16x32_fp8_fp8 v[48:51], a[42:43], a[10:11], v[48:51]// 00000000322C: D3F30030 1CC2152A
	buffer_load_dwordx4 a[20:23], v34, s[24:27], 0 offen offset:1024// 000000003234: E05C1400 80861422
	s_add_u32 s20, s57, s20                                    // 00000000323C: 80141439
	s_addc_u32 s21, 0, s21                                     // 000000003240: 82151580
	v_mfma_f32_16x16x32_fp8_fp8 v[48:51], a[44:45], a[12:13], v[48:51]// 000000003244: D3F30030 1CC2192C
	s_add_u32 s84, s83, s84                                    // 00000000324C: 80545453
	s_addc_u32 s85, 0, s85                                     // 000000003250: 82555580
	v_mfma_f32_16x16x32_fp8_fp8 v[48:51], a[46:47], a[14:15], v[48:51]// 000000003254: D3F30030 1CC21D2E
	buffer_load_dwordx4 a[24:27], v35, s[24:27], 0 offen       // 00000000325C: E05C1000 80861823
	buffer_load_dwordx4 a[28:31], v35, s[24:27], 0 offen offset:1024// 000000003264: E05C1400 80861C23
	s_add_u32 s24, s58, s24                                    // 00000000326C: 8018183A
	s_addc_u32 s25, 0, s25                                     // 000000003270: 82191980
	s_addk_i32 s80, 0x80                                       // 000000003274: B7500080
	s_cmp_lt_i32 s80, s81                                      // 000000003278: BF045150
	s_cbranch_scc0 label_0221                                  // 00000000327C: BF840001
	s_branch label_0178                                        // 000000003280: BF82FF57

0000000000003284 <label_0221>:
	v_mul_f32_dpp v36, v24, v36 row_newbcast:0 row_mask:0xf bank_mask:0xf// 000000003284: 0A4848FA FF015018
	v_mul_f32_dpp v37, v24, v37 row_newbcast:1 row_mask:0xf bank_mask:0xf// 00000000328C: 0A4A4AFA FF015118
	v_mul_f32_dpp v38, v24, v38 row_newbcast:2 row_mask:0xf bank_mask:0xf// 000000003294: 0A4C4CFA FF015218
	v_mul_f32_dpp v39, v24, v39 row_newbcast:3 row_mask:0xf bank_mask:0xf// 00000000329C: 0A4E4EFA FF015318
	v_mul_f32_dpp v40, v24, v40 row_newbcast:4 row_mask:0xf bank_mask:0xf// 0000000032A4: 0A5050FA FF015418
	v_mul_f32_dpp v41, v24, v41 row_newbcast:5 row_mask:0xf bank_mask:0xf// 0000000032AC: 0A5252FA FF015518
	v_mul_f32_dpp v42, v24, v42 row_newbcast:6 row_mask:0xf bank_mask:0xf// 0000000032B4: 0A5454FA FF015618
	v_mul_f32_dpp v43, v24, v43 row_newbcast:7 row_mask:0xf bank_mask:0xf// 0000000032BC: 0A5656FA FF015718
	v_mul_f32_dpp v44, v26, v44 row_newbcast:0 row_mask:0xf bank_mask:0xf// 0000000032C4: 0A5858FA FF01501A
	v_mul_f32_dpp v45, v26, v45 row_newbcast:1 row_mask:0xf bank_mask:0xf// 0000000032CC: 0A5A5AFA FF01511A
	v_mul_f32_dpp v46, v26, v46 row_newbcast:2 row_mask:0xf bank_mask:0xf// 0000000032D4: 0A5C5CFA FF01521A
	v_mul_f32_dpp v47, v26, v47 row_newbcast:3 row_mask:0xf bank_mask:0xf// 0000000032DC: 0A5E5EFA FF01531A
	v_mul_f32_dpp v48, v26, v48 row_newbcast:4 row_mask:0xf bank_mask:0xf// 0000000032E4: 0A6060FA FF01541A
	v_mul_f32_dpp v49, v26, v49 row_newbcast:5 row_mask:0xf bank_mask:0xf// 0000000032EC: 0A6262FA FF01551A
	v_mul_f32_dpp v50, v26, v50 row_newbcast:6 row_mask:0xf bank_mask:0xf// 0000000032F4: 0A6464FA FF01561A
	v_mul_f32_dpp v51, v26, v51 row_newbcast:7 row_mask:0xf bank_mask:0xf// 0000000032FC: 0A6666FA FF01571A
	v_mov_b32_e32 v4, v29                                      // 000000003304: 7E08031D
	v_mov_b32_e32 v5, v4                                       // 000000003308: 7E0A0304
	v_pk_mul_f32 v[36:37], v[4:5], v[36:37]                    // 00000000330C: D3B14024 18024904
	v_pk_mul_f32 v[44:45], v[4:5], v[44:45]                    // 000000003314: D3B1402C 18025904
	v_pk_mul_f32 v[38:39], v[4:5], v[38:39]                    // 00000000331C: D3B14026 18024D04
	v_pk_mul_f32 v[46:47], v[4:5], v[46:47]                    // 000000003324: D3B1402E 18025D04
	v_pk_mul_f32 v[40:41], v[4:5], v[40:41]                    // 00000000332C: D3B14028 18025104
	v_pk_mul_f32 v[48:49], v[4:5], v[48:49]                    // 000000003334: D3B14030 18026104
	v_pk_mul_f32 v[42:43], v[4:5], v[42:43]                    // 00000000333C: D3B1402A 18025504
	v_pk_mul_f32 v[50:51], v[4:5], v[50:51]                    // 000000003344: D3B14032 18026504
	s_cmp_eq_u32 s88, 0                                        // 00000000334C: BF068058
	s_cbranch_scc0 label_039E                                  // 000000003350: BF840149
	s_cmp_eq_u32 s89, 0                                        // 000000003354: BF068059
	s_cbranch_scc1 label_02AC                                  // 000000003358: BF850055
	v_mov_b32_e32 v8, v1                                       // 00000000335C: 7E100301
	v_mov_b32_e32 v9, v1                                       // 000000003360: 7E120301
	s_mov_b32 s60, s6                                          // 000000003364: BEBC0006
	s_mov_b32 s61, s6                                          // 000000003368: BEBD0006
	v_pk_mul_f32 v[4:5], v[36:37], v[36:37]                    // 00000000336C: D3B14004 18024924
	v_pk_mul_f32 v[6:7], v[38:39], v[38:39]                    // 000000003374: D3B14006 18024D26
	v_pk_fma_f32 v[4:5], v[4:5], s[78:79], v[8:9]              // 00000000337C: D3B04004 1C209D04
	v_pk_fma_f32 v[6:7], v[6:7], s[78:79], v[8:9]              // 000000003384: D3B04006 1C209D06
	v_pk_mul_f32 v[4:5], v[4:5], v[36:37]                      // 00000000338C: D3B14004 18024904
	v_pk_mul_f32 v[6:7], v[6:7], v[38:39]                      // 000000003394: D3B14006 18024D06
	v_pk_mul_f32 v[4:5], v[4:5], s[60:61]                      // 00000000339C: D3B14004 18007904
	v_pk_mul_f32 v[6:7], v[6:7], s[60:61]                      // 0000000033A4: D3B14006 18007906
	v_exp_f32_e32 v4, v4                                       // 0000000033AC: 7E084104
	v_exp_f32_e32 v5, v5                                       // 0000000033B0: 7E0A4105
	v_exp_f32_e32 v6, v6                                       // 0000000033B4: 7E0C4106
	v_exp_f32_e32 v7, v7                                       // 0000000033B8: 7E0E4107
	v_add_f32_e64 v4, v4, 1.0                                  // 0000000033BC: D1010004 0001E504
	v_add_f32_e64 v5, v5, 1.0                                  // 0000000033C4: D1010005 0001E505
	v_add_f32_e64 v6, v6, 1.0                                  // 0000000033CC: D1010006 0001E506
	v_add_f32_e64 v7, v7, 1.0                                  // 0000000033D4: D1010007 0001E507
	v_rcp_f32_e32 v4, v4                                       // 0000000033DC: 7E084504
	v_rcp_f32_e32 v5, v5                                       // 0000000033E0: 7E0A4505
	v_rcp_f32_e32 v6, v6                                       // 0000000033E4: 7E0C4506
	v_rcp_f32_e32 v7, v7                                       // 0000000033E8: 7E0E4507
	v_mul_f32_e32 v36, v36, v4                                 // 0000000033EC: 0A480924
	v_mul_f32_e32 v37, v37, v5                                 // 0000000033F0: 0A4A0B25
	v_mul_f32_e32 v38, v38, v6                                 // 0000000033F4: 0A4C0D26
	v_mul_f32_e32 v39, v39, v7                                 // 0000000033F8: 0A4E0F27
	v_mul_f32_e32 v36, v36, v44                                // 0000000033FC: 0A485924
	v_mul_f32_e32 v37, v37, v45                                // 000000003400: 0A4A5B25
	v_mul_f32_e32 v38, v38, v46                                // 000000003404: 0A4C5D26
	v_mul_f32_e32 v39, v39, v47                                // 000000003408: 0A4E5F27
	v_pk_mul_f32 v[4:5], v[40:41], v[40:41]                    // 00000000340C: D3B14004 18025128
	v_pk_mul_f32 v[6:7], v[42:43], v[42:43]                    // 000000003414: D3B14006 1802552A
	v_pk_fma_f32 v[4:5], v[4:5], s[78:79], v[8:9]              // 00000000341C: D3B04004 1C209D04
	v_pk_fma_f32 v[6:7], v[6:7], s[78:79], v[8:9]              // 000000003424: D3B04006 1C209D06
	v_pk_mul_f32 v[4:5], v[4:5], v[40:41]                      // 00000000342C: D3B14004 18025104
	v_pk_mul_f32 v[6:7], v[6:7], v[42:43]                      // 000000003434: D3B14006 18025506
	v_pk_mul_f32 v[4:5], v[4:5], s[60:61]                      // 00000000343C: D3B14004 18007904
	v_pk_mul_f32 v[6:7], v[6:7], s[60:61]                      // 000000003444: D3B14006 18007906
	v_exp_f32_e32 v4, v4                                       // 00000000344C: 7E084104
	v_exp_f32_e32 v5, v5                                       // 000000003450: 7E0A4105
	v_exp_f32_e32 v6, v6                                       // 000000003454: 7E0C4106
	v_exp_f32_e32 v7, v7                                       // 000000003458: 7E0E4107
	v_add_f32_e64 v4, v4, 1.0                                  // 00000000345C: D1010004 0001E504
	v_add_f32_e64 v5, v5, 1.0                                  // 000000003464: D1010005 0001E505
	v_add_f32_e64 v6, v6, 1.0                                  // 00000000346C: D1010006 0001E506
	v_add_f32_e64 v7, v7, 1.0                                  // 000000003474: D1010007 0001E507
	v_rcp_f32_e32 v4, v4                                       // 00000000347C: 7E084504
	v_rcp_f32_e32 v5, v5                                       // 000000003480: 7E0A4505
	v_rcp_f32_e32 v6, v6                                       // 000000003484: 7E0C4506
	v_rcp_f32_e32 v7, v7                                       // 000000003488: 7E0E4507
	v_mul_f32_e32 v40, v40, v4                                 // 00000000348C: 0A500928
	v_mul_f32_e32 v41, v41, v5                                 // 000000003490: 0A520B29
	v_mul_f32_e32 v42, v42, v6                                 // 000000003494: 0A540D2A
	v_mul_f32_e32 v43, v43, v7                                 // 000000003498: 0A560F2B
	v_mul_f32_e32 v40, v40, v48                                // 00000000349C: 0A506128
	v_mul_f32_e32 v41, v41, v49                                // 0000000034A0: 0A526329
	v_mul_f32_e32 v42, v42, v50                                // 0000000034A4: 0A54652A
	v_mul_f32_e32 v43, v43, v51                                // 0000000034A8: 0A56672B
	s_branch label_02EC                                        // 0000000034AC: BF820040

00000000000034b0 <label_02AC>:
	v_mul_f32_e64 v4, -v36, s6                                 // 0000000034B0: D1050004 20000D24
	v_mul_f32_e64 v5, -v37, s6                                 // 0000000034B8: D1050005 20000D25
	v_mul_f32_e64 v6, -v38, s6                                 // 0000000034C0: D1050006 20000D26
	v_mul_f32_e64 v7, -v39, s6                                 // 0000000034C8: D1050007 20000D27
	v_exp_f32_e32 v4, v4                                       // 0000000034D0: 7E084104
	v_exp_f32_e32 v5, v5                                       // 0000000034D4: 7E0A4105
	v_exp_f32_e32 v6, v6                                       // 0000000034D8: 7E0C4106
	v_exp_f32_e32 v7, v7                                       // 0000000034DC: 7E0E4107
	v_add_f32_e64 v4, v4, 1.0                                  // 0000000034E0: D1010004 0001E504
	v_add_f32_e64 v5, v5, 1.0                                  // 0000000034E8: D1010005 0001E505
	v_add_f32_e64 v6, v6, 1.0                                  // 0000000034F0: D1010006 0001E506
	v_add_f32_e64 v7, v7, 1.0                                  // 0000000034F8: D1010007 0001E507
	v_rcp_f32_e32 v4, v4                                       // 000000003500: 7E084504
	v_rcp_f32_e32 v5, v5                                       // 000000003504: 7E0A4505
	v_rcp_f32_e32 v6, v6                                       // 000000003508: 7E0C4506
	v_rcp_f32_e32 v7, v7                                       // 00000000350C: 7E0E4507
	v_mul_f32_e32 v36, v36, v4                                 // 000000003510: 0A480924
	v_mul_f32_e32 v37, v37, v5                                 // 000000003514: 0A4A0B25
	v_mul_f32_e32 v38, v38, v6                                 // 000000003518: 0A4C0D26
	v_mul_f32_e32 v39, v39, v7                                 // 00000000351C: 0A4E0F27
	v_mul_f32_e32 v36, v36, v44                                // 000000003520: 0A485924
	v_mul_f32_e32 v37, v37, v45                                // 000000003524: 0A4A5B25
	v_mul_f32_e32 v38, v38, v46                                // 000000003528: 0A4C5D26
	v_mul_f32_e32 v39, v39, v47                                // 00000000352C: 0A4E5F27
	v_mul_f32_e64 v4, -v40, s6                                 // 000000003530: D1050004 20000D28
	v_mul_f32_e64 v5, -v41, s6                                 // 000000003538: D1050005 20000D29
	v_mul_f32_e64 v6, -v42, s6                                 // 000000003540: D1050006 20000D2A
	v_mul_f32_e64 v7, -v43, s6                                 // 000000003548: D1050007 20000D2B
	v_exp_f32_e32 v4, v4                                       // 000000003550: 7E084104
	v_exp_f32_e32 v5, v5                                       // 000000003554: 7E0A4105
	v_exp_f32_e32 v6, v6                                       // 000000003558: 7E0C4106
	v_exp_f32_e32 v7, v7                                       // 00000000355C: 7E0E4107
	v_add_f32_e64 v4, v4, 1.0                                  // 000000003560: D1010004 0001E504
	v_add_f32_e64 v5, v5, 1.0                                  // 000000003568: D1010005 0001E505
	v_add_f32_e64 v6, v6, 1.0                                  // 000000003570: D1010006 0001E506
	v_add_f32_e64 v7, v7, 1.0                                  // 000000003578: D1010007 0001E507
	v_rcp_f32_e32 v4, v4                                       // 000000003580: 7E084504
	v_rcp_f32_e32 v5, v5                                       // 000000003584: 7E0A4505
	v_rcp_f32_e32 v6, v6                                       // 000000003588: 7E0C4506
	v_rcp_f32_e32 v7, v7                                       // 00000000358C: 7E0E4507
	v_mul_f32_e32 v40, v40, v4                                 // 000000003590: 0A500928
	v_mul_f32_e32 v41, v41, v5                                 // 000000003594: 0A520B29
	v_mul_f32_e32 v42, v42, v6                                 // 000000003598: 0A540D2A
	v_mul_f32_e32 v43, v43, v7                                 // 00000000359C: 0A560F2B
	v_mul_f32_e32 v40, v40, v48                                // 0000000035A0: 0A506128
	v_mul_f32_e32 v41, v41, v49                                // 0000000035A4: 0A526329
	v_mul_f32_e32 v42, v42, v50                                // 0000000035A8: 0A54652A
	v_mul_f32_e32 v43, v43, v51                                // 0000000035AC: 0A56672B

00000000000035b0 <label_02EC>:
	v_cmp_u_f32_e64 s[46:47], v36, v36                         // 0000000035B0: D048002E 00024924
	v_add3_u32 v16, v36, v19, 1                                // 0000000035B8: D1FF0010 02062724
	v_cndmask_b32_e64 v4, v16, v18, s[46:47]                   // 0000000035C0: D1000004 00BA2510
	v_cmp_u_f32_e64 s[46:47], v37, v37                         // 0000000035C8: D048002E 00024B25
	v_add3_u32 v16, v37, v19, 1                                // 0000000035D0: D1FF0010 02062725
	v_cndmask_b32_e64 v5, v16, v18, s[46:47]                   // 0000000035D8: D1000005 00BA2510
	v_perm_b32 v36, v5, v4, s52                                // 0000000035E0: D1ED0024 00D20905
	v_cmp_u_f32_e64 s[46:47], v38, v38                         // 0000000035E8: D048002E 00024D26
	v_add3_u32 v16, v38, v19, 1                                // 0000000035F0: D1FF0010 02062726
	v_cndmask_b32_e64 v4, v16, v18, s[46:47]                   // 0000000035F8: D1000004 00BA2510
	v_cmp_u_f32_e64 s[46:47], v39, v39                         // 000000003600: D048002E 00024F27
	v_add3_u32 v16, v39, v19, 1                                // 000000003608: D1FF0010 02062727
	v_cndmask_b32_e64 v5, v16, v18, s[46:47]                   // 000000003610: D1000005 00BA2510
	v_perm_b32 v37, v5, v4, s52                                // 000000003618: D1ED0025 00D20905
	v_cmp_u_f32_e64 s[46:47], v40, v40                         // 000000003620: D048002E 00025128
	v_add3_u32 v16, v40, v19, 1                                // 000000003628: D1FF0010 02062728
	v_cndmask_b32_e64 v4, v16, v18, s[46:47]                   // 000000003630: D1000004 00BA2510
	v_cmp_u_f32_e64 s[46:47], v41, v41                         // 000000003638: D048002E 00025329
	v_add3_u32 v16, v41, v19, 1                                // 000000003640: D1FF0010 02062729
	v_cndmask_b32_e64 v5, v16, v18, s[46:47]                   // 000000003648: D1000005 00BA2510
	v_perm_b32 v38, v5, v4, s52                                // 000000003650: D1ED0026 00D20905
	v_cmp_u_f32_e64 s[46:47], v42, v42                         // 000000003658: D048002E 0002552A
	v_add3_u32 v16, v42, v19, 1                                // 000000003660: D1FF0010 0206272A
	v_cndmask_b32_e64 v4, v16, v18, s[46:47]                   // 000000003668: D1000004 00BA2510
	v_cmp_u_f32_e64 s[46:47], v43, v43                         // 000000003670: D048002E 0002572B
	v_add3_u32 v16, v43, v19, 1                                // 000000003678: D1FF0010 0206272B
	v_cndmask_b32_e64 v5, v16, v18, s[46:47]                   // 000000003680: D1000005 00BA2510
	v_perm_b32 v39, v5, v4, s52                                // 000000003688: D1ED0027 00D20905
	ds_write_b64 v20, v[36:37]                                 // 000000003690: D89A0000 00002414
	ds_write_b64 v20, v[38:39] offset:2176                     // 000000003698: D89A0880 00002614
	v_lshrrev_b32_e32 v4, 5, v0                                // 0000000036A0: 20080085
	v_xor_b32_e32 v5, 1, v4                                    // 0000000036A4: 2A0A0881
	s_mul_i32 s60, s65, 2                                      // 0000000036A8: 923C8241
	s_cmp_eq_u32 s88, 0                                        // 0000000036AC: BF068058
	s_cselect_b32 s61, 1, 4                                    // 0000000036B0: 853D8481
	s_mul_i32 s60, s61, s60                                    // 0000000036B4: 923C3C3D
	v_readlane_b32 s82, v3, 0                                  // 0000000036B8: D2890052 00010103
	s_lshr_b32 s61, s82, 24                                    // 0000000036C0: 8F3D9852
	s_and_b32 s82, s82, 0xffffff                               // 0000000036C4: 8652FF52 00FFFFFF
	s_mul_i32 s82, s82, s71                                    // 0000000036CC: 92524752
	s_mul_i32 s61, s60, s61                                    // 0000000036D0: 923D3D3C
	s_add_u32 s82, s82, s61                                    // 0000000036D4: 80523D52
	v_mul_lo_u32 v6, v5, s82                                   // 0000000036D8: D2850006 0000A505
	v_readlane_b32 s82, v3, 1                                  // 0000000036E0: D2890052 00010303
	s_lshr_b32 s61, s82, 24                                    // 0000000036E8: 8F3D9852
	s_and_b32 s82, s82, 0xffffff                               // 0000000036EC: 8652FF52 00FFFFFF
	s_mul_i32 s82, s82, s71                                    // 0000000036F4: 92524752
	s_mul_i32 s61, s60, s61                                    // 0000000036F8: 923D3D3C
	s_add_u32 s82, s82, s61                                    // 0000000036FC: 80523D52
	v_mul_lo_u32 v7, v4, s82                                   // 000000003700: D2850007 0000A504
	v_add_u32_e32 v32, v6, v7                                  // 000000003708: 68400F06
	v_readlane_b32 s82, v3, 2                                  // 00000000370C: D2890052 00010503
	s_lshr_b32 s61, s82, 24                                    // 000000003714: 8F3D9852
	s_and_b32 s82, s82, 0xffffff                               // 000000003718: 8652FF52 00FFFFFF
	s_mul_i32 s82, s82, s71                                    // 000000003720: 92524752
	s_mul_i32 s61, s60, s61                                    // 000000003724: 923D3D3C
	s_add_u32 s82, s82, s61                                    // 000000003728: 80523D52
	v_mul_lo_u32 v6, v5, s82                                   // 00000000372C: D2850006 0000A505
	v_readlane_b32 s82, v3, 3                                  // 000000003734: D2890052 00010703
	s_lshr_b32 s61, s82, 24                                    // 00000000373C: 8F3D9852
	s_and_b32 s82, s82, 0xffffff                               // 000000003740: 8652FF52 00FFFFFF
	s_mul_i32 s82, s82, s71                                    // 000000003748: 92524752
	s_mul_i32 s61, s60, s61                                    // 00000000374C: 923D3D3C
	s_add_u32 s82, s82, s61                                    // 000000003750: 80523D52
	v_mul_lo_u32 v7, v4, s82                                   // 000000003754: D2850007 0000A504
	v_add_u32_e32 v33, v6, v7                                  // 00000000375C: 68420F06
	v_and_b32_e32 v4, 31, v0                                   // 000000003760: 2608009F
	v_lshrrev_b32_e32 v4, 1, v4                                // 000000003764: 20080881
	s_cmp_eq_u32 s88, 0                                        // 000000003768: BF068058
	s_cselect_b32 s61, 2, 4                                    // 00000000376C: 853D8482
	v_mul_lo_u32 v4, v4, s61                                   // 000000003770: D2850004 00007B04
	v_and_b32_e64 v5, v0, 1                                    // 000000003778: D1130005 00010300
	v_add_u32_e32 v4, v4, v5                                   // 000000003780: 68080B04
	v_lshlrev_b32_e32 v4, 2, v4                                // 000000003784: 24080882
	v_add_u32_e32 v32, v32, v4                                 // 000000003788: 68400920
	v_add_u32_e32 v33, v33, v4                                 // 00000000378C: 68420921
	s_waitcnt lgkmcnt(0)                                       // 000000003790: BF8CC07F
	s_barrier                                                  // 000000003794: BF8A0000
	ds_read_b32 v36, v21                                       // 000000003798: D86C0000 24000015
	ds_read_b32 v37, v21 offset:64                             // 0000000037A0: D86C0040 25000015
	ds_read_b32 v38, v21 offset:2176                           // 0000000037A8: D86C0880 26000015
	ds_read_b32 v39, v21 offset:2240                           // 0000000037B0: D86C08C0 27000015
	s_waitcnt lgkmcnt(0)                                       // 0000000037B8: BF8CC07F
	s_mov_b32 s36, -1                                          // 0000000037BC: BEA400C1
	s_mov_b32 s37, -1                                          // 0000000037C0: BEA500C1
	v_mov_b32_e32 v7, 0                                        // 0000000037C4: 7E0E0280
	s_or_b32 s9, s9, 0x40000                                   // 0000000037C8: 8709FF09 00040000
	s_mov_b64 exec, s[36:37]                                   // 0000000037D0: BEFE0124
	v_mov_b32_e32 v6, v32                                      // 0000000037D4: 7E0C0320
	s_mov_b64 s[60:61], 0                                      // 0000000037D8: BEBC0180
	v_readlane_b32 s82, v3, 0                                  // 0000000037DC: D2890052 00010103
	s_and_b32 s82, s82, 0xffffff                               // 0000000037E4: 8652FF52 00FFFFFF
	s_cmp_lt_u32 s82, s66                                      // 0000000037EC: BF0A4252
	s_cselect_b32 s20, s36, s60                                // 0000000037F0: 85143C24
	v_readlane_b32 s82, v3, 1                                  // 0000000037F4: D2890052 00010303
	s_and_b32 s82, s82, 0xffffff                               // 0000000037FC: 8652FF52 00FFFFFF
	s_cmp_lt_u32 s82, s66                                      // 000000003804: BF0A4252
	s_cselect_b32 s21, s36, s60                                // 000000003808: 85153C24
	s_mov_b64 exec, s[20:21]                                   // 00000000380C: BEFE0114
	buffer_store_dword v36, v6, s[8:11], 0 offen               // 000000003810: E0701000 80022406
	buffer_store_dword v38, v6, s[8:11], 0 offen offset:128    // 000000003818: E0701080 80022606
	s_mov_b64 exec, s[36:37]                                   // 000000003820: BEFE0124
	v_mov_b32_e32 v6, v33                                      // 000000003824: 7E0C0321
	s_mov_b64 s[60:61], 0                                      // 000000003828: BEBC0180
	v_readlane_b32 s82, v3, 2                                  // 00000000382C: D2890052 00010503
	s_and_b32 s82, s82, 0xffffff                               // 000000003834: 8652FF52 00FFFFFF
	s_cmp_lt_u32 s82, s66                                      // 00000000383C: BF0A4252
	s_cselect_b32 s20, s36, s60                                // 000000003840: 85143C24
	v_readlane_b32 s82, v3, 3                                  // 000000003844: D2890052 00010703
	s_and_b32 s82, s82, 0xffffff                               // 00000000384C: 8652FF52 00FFFFFF
	s_cmp_lt_u32 s82, s66                                      // 000000003854: BF0A4252
	s_cselect_b32 s21, s36, s60                                // 000000003858: 85153C24
	s_mov_b64 exec, s[20:21]                                   // 00000000385C: BEFE0114
	buffer_store_dword v37, v6, s[8:11], 0 offen               // 000000003860: E0701000 80022506
	buffer_store_dword v39, v6, s[8:11], 0 offen offset:128    // 000000003868: E0701080 80022706
	s_mov_b64 exec, s[36:37]                                   // 000000003870: BEFE0124
	s_branch label_0813                                        // 000000003874: BF820472

0000000000003878 <label_039E>:
	ds_write_b64 v20, v[36:37]                                 // 000000003878: D89A0000 00002414
	ds_write_b64 v20, v[40:41] offset:2176                     // 000000003880: D89A0880 00002814
	v_lshrrev_b32_e32 v4, 5, v0                                // 000000003888: 20080085
	v_xor_b32_e32 v5, 1, v4                                    // 00000000388C: 2A0A0881
	s_mul_i32 s60, s65, 2                                      // 000000003890: 923C8241
	s_cmp_eq_u32 s88, 0                                        // 000000003894: BF068058
	s_cselect_b32 s61, 1, 4                                    // 000000003898: 853D8481
	s_mul_i32 s60, s61, s60                                    // 00000000389C: 923C3C3D
	v_readlane_b32 s82, v3, 0                                  // 0000000038A0: D2890052 00010103
	s_lshr_b32 s61, s82, 24                                    // 0000000038A8: 8F3D9852
	s_and_b32 s82, s82, 0xffffff                               // 0000000038AC: 8652FF52 00FFFFFF
	s_mul_i32 s82, s82, s71                                    // 0000000038B4: 92524752
	s_mul_i32 s61, s60, s61                                    // 0000000038B8: 923D3D3C
	s_add_u32 s82, s82, s61                                    // 0000000038BC: 80523D52
	v_mul_lo_u32 v6, v5, s82                                   // 0000000038C0: D2850006 0000A505
	v_readlane_b32 s82, v3, 1                                  // 0000000038C8: D2890052 00010303
	s_lshr_b32 s61, s82, 24                                    // 0000000038D0: 8F3D9852
	s_and_b32 s82, s82, 0xffffff                               // 0000000038D4: 8652FF52 00FFFFFF
	s_mul_i32 s82, s82, s71                                    // 0000000038DC: 92524752
	s_mul_i32 s61, s60, s61                                    // 0000000038E0: 923D3D3C
	s_add_u32 s82, s82, s61                                    // 0000000038E4: 80523D52
	v_mul_lo_u32 v7, v4, s82                                   // 0000000038E8: D2850007 0000A504
	v_add_u32_e32 v32, v6, v7                                  // 0000000038F0: 68400F06
	v_readlane_b32 s82, v3, 2                                  // 0000000038F4: D2890052 00010503
	s_lshr_b32 s61, s82, 24                                    // 0000000038FC: 8F3D9852
	s_and_b32 s82, s82, 0xffffff                               // 000000003900: 8652FF52 00FFFFFF
	s_mul_i32 s82, s82, s71                                    // 000000003908: 92524752
	s_mul_i32 s61, s60, s61                                    // 00000000390C: 923D3D3C
	s_add_u32 s82, s82, s61                                    // 000000003910: 80523D52
	v_mul_lo_u32 v6, v5, s82                                   // 000000003914: D2850006 0000A505
	v_readlane_b32 s82, v3, 3                                  // 00000000391C: D2890052 00010703
	s_lshr_b32 s61, s82, 24                                    // 000000003924: 8F3D9852
	s_and_b32 s82, s82, 0xffffff                               // 000000003928: 8652FF52 00FFFFFF
	s_mul_i32 s82, s82, s71                                    // 000000003930: 92524752
	s_mul_i32 s61, s60, s61                                    // 000000003934: 923D3D3C
	s_add_u32 s82, s82, s61                                    // 000000003938: 80523D52
	v_mul_lo_u32 v7, v4, s82                                   // 00000000393C: D2850007 0000A504
	v_add_u32_e32 v33, v6, v7                                  // 000000003944: 68420F06
	v_and_b32_e32 v4, 31, v0                                   // 000000003948: 2608009F
	v_lshrrev_b32_e32 v4, 1, v4                                // 00000000394C: 20080881
	s_cmp_eq_u32 s88, 0                                        // 000000003950: BF068058
	s_cselect_b32 s61, 2, 4                                    // 000000003954: 853D8482
	v_mul_lo_u32 v4, v4, s61                                   // 000000003958: D2850004 00007B04
	v_and_b32_e64 v5, v0, 1                                    // 000000003960: D1130005 00010300
	v_add_u32_e32 v4, v4, v5                                   // 000000003968: 68080B04
	v_lshlrev_b32_e32 v4, 2, v4                                // 00000000396C: 24080882
	v_add_u32_e32 v32, v32, v4                                 // 000000003970: 68400920
	v_add_u32_e32 v33, v33, v4                                 // 000000003974: 68420921
	s_waitcnt lgkmcnt(0)                                       // 000000003978: BF8CC07F
	s_barrier                                                  // 00000000397C: BF8A0000
	ds_read_b32 v36, v21                                       // 000000003980: D86C0000 24000015
	ds_read_b32 v37, v21 offset:64                             // 000000003988: D86C0040 25000015
	ds_read_b32 v40, v21 offset:2176                           // 000000003990: D86C0880 28000015
	ds_read_b32 v41, v21 offset:2240                           // 000000003998: D86C08C0 29000015
	s_waitcnt lgkmcnt(0)                                       // 0000000039A0: BF8CC07F
	s_mov_b32 s36, -1                                          // 0000000039A4: BEA400C1
	s_mov_b32 s37, -1                                          // 0000000039A8: BEA500C1
	v_mov_b32_e32 v7, 0                                        // 0000000039AC: 7E0E0280
	s_mov_b64 exec, s[36:37]                                   // 0000000039B0: BEFE0124
	v_mov_b32_e32 v6, v32                                      // 0000000039B4: 7E0C0320
	s_mov_b64 s[60:61], 0                                      // 0000000039B8: BEBC0180
	v_readlane_b32 s82, v3, 0                                  // 0000000039BC: D2890052 00010103
	s_and_b32 s82, s82, 0xffffff                               // 0000000039C4: 8652FF52 00FFFFFF
	s_cmp_lt_u32 s82, s66                                      // 0000000039CC: BF0A4252
	s_cselect_b32 s20, s36, s60                                // 0000000039D0: 85143C24
	v_readlane_b32 s82, v3, 1                                  // 0000000039D4: D2890052 00010303
	s_and_b32 s82, s82, 0xffffff                               // 0000000039DC: 8652FF52 00FFFFFF
	s_cmp_lt_u32 s82, s66                                      // 0000000039E4: BF0A4252
	s_cselect_b32 s21, s36, s60                                // 0000000039E8: 85153C24
	s_mov_b64 exec, s[20:21]                                   // 0000000039EC: BEFE0114
	global_atomic_add_f32 v6, v36, s[8:9]                      // 0000000039F0: DD348000 00082406
	global_atomic_add_f32 v6, v40, s[8:9] offset:256           // 0000000039F8: DD348100 00082806
	s_mov_b64 exec, s[36:37]                                   // 000000003A00: BEFE0124
	v_mov_b32_e32 v6, v33                                      // 000000003A04: 7E0C0321
	s_mov_b64 s[60:61], 0                                      // 000000003A08: BEBC0180
	v_readlane_b32 s82, v3, 2                                  // 000000003A0C: D2890052 00010503
	s_and_b32 s82, s82, 0xffffff                               // 000000003A14: 8652FF52 00FFFFFF
	s_cmp_lt_u32 s82, s66                                      // 000000003A1C: BF0A4252
	s_cselect_b32 s20, s36, s60                                // 000000003A20: 85143C24
	v_readlane_b32 s82, v3, 3                                  // 000000003A24: D2890052 00010703
	s_and_b32 s82, s82, 0xffffff                               // 000000003A2C: 8652FF52 00FFFFFF
	s_cmp_lt_u32 s82, s66                                      // 000000003A34: BF0A4252
	s_cselect_b32 s21, s36, s60                                // 000000003A38: 85153C24
	s_mov_b64 exec, s[20:21]                                   // 000000003A3C: BEFE0114
	global_atomic_add_f32 v6, v37, s[8:9]                      // 000000003A40: DD348000 00082506
	global_atomic_add_f32 v6, v41, s[8:9] offset:256           // 000000003A48: DD348100 00082906
	s_mov_b64 exec, s[36:37]                                   // 000000003A50: BEFE0124
	ds_write_b64 v20, v[38:39]                                 // 000000003A54: D89A0000 00002614
	ds_write_b64 v20, v[42:43] offset:2176                     // 000000003A5C: D89A0880 00002A14
	s_waitcnt lgkmcnt(0)                                       // 000000003A64: BF8CC07F
	s_barrier                                                  // 000000003A68: BF8A0000
	ds_read_b32 v38, v21                                       // 000000003A6C: D86C0000 26000015
	ds_read_b32 v39, v21 offset:64                             // 000000003A74: D86C0040 27000015
	ds_read_b32 v42, v21 offset:2176                           // 000000003A7C: D86C0880 2A000015
	ds_read_b32 v43, v21 offset:2240                           // 000000003A84: D86C08C0 2B000015
	s_waitcnt lgkmcnt(0)                                       // 000000003A8C: BF8CC07F
	v_mov_b32_e32 v7, 0                                        // 000000003A90: 7E0E0280
	s_mov_b64 exec, s[36:37]                                   // 000000003A94: BEFE0124
	v_mov_b32_e32 v6, v32                                      // 000000003A98: 7E0C0320
	s_mov_b64 s[60:61], 0                                      // 000000003A9C: BEBC0180
	v_readlane_b32 s82, v3, 0                                  // 000000003AA0: D2890052 00010103
	s_and_b32 s82, s82, 0xffffff                               // 000000003AA8: 8652FF52 00FFFFFF
	s_cmp_lt_u32 s82, s66                                      // 000000003AB0: BF0A4252
	s_cselect_b32 s20, s36, s60                                // 000000003AB4: 85143C24
	v_readlane_b32 s82, v3, 1                                  // 000000003AB8: D2890052 00010303
	s_and_b32 s82, s82, 0xffffff                               // 000000003AC0: 8652FF52 00FFFFFF
	s_cmp_lt_u32 s82, s66                                      // 000000003AC8: BF0A4252
	s_cselect_b32 s21, s36, s60                                // 000000003ACC: 85153C24
	s_mov_b64 exec, s[20:21]                                   // 000000003AD0: BEFE0114
	global_atomic_add_f32 v6, v38, s[8:9] offset:8             // 000000003AD4: DD348008 00082606
	global_atomic_add_f32 v6, v42, s[8:9] offset:264           // 000000003ADC: DD348108 00082A06
	s_mov_b64 exec, s[36:37]                                   // 000000003AE4: BEFE0124
	v_mov_b32_e32 v6, v33                                      // 000000003AE8: 7E0C0321
	s_mov_b64 s[60:61], 0                                      // 000000003AEC: BEBC0180
	v_readlane_b32 s82, v3, 2                                  // 000000003AF0: D2890052 00010503
	s_and_b32 s82, s82, 0xffffff                               // 000000003AF8: 8652FF52 00FFFFFF
	s_cmp_lt_u32 s82, s66                                      // 000000003B00: BF0A4252
	s_cselect_b32 s20, s36, s60                                // 000000003B04: 85143C24
	v_readlane_b32 s82, v3, 3                                  // 000000003B08: D2890052 00010703
	s_and_b32 s82, s82, 0xffffff                               // 000000003B10: 8652FF52 00FFFFFF
	s_cmp_lt_u32 s82, s66                                      // 000000003B18: BF0A4252
	s_cselect_b32 s21, s36, s60                                // 000000003B1C: 85153C24
	s_mov_b64 exec, s[20:21]                                   // 000000003B20: BEFE0114
	global_atomic_add_f32 v6, v39, s[8:9] offset:8             // 000000003B24: DD348008 00082706
	global_atomic_add_f32 v6, v43, s[8:9] offset:264           // 000000003B2C: DD348108 00082B06
	s_mov_b64 exec, s[36:37]                                   // 000000003B34: BEFE0124
	ds_write_b64 v20, v[44:45]                                 // 000000003B38: D89A0000 00002C14
	ds_write_b64 v20, v[48:49] offset:2176                     // 000000003B40: D89A0880 00003014
	s_waitcnt lgkmcnt(0)                                       // 000000003B48: BF8CC07F
	s_barrier                                                  // 000000003B4C: BF8A0000
	ds_read_b32 v44, v21                                       // 000000003B50: D86C0000 2C000015
	ds_read_b32 v45, v21 offset:64                             // 000000003B58: D86C0040 2D000015
	ds_read_b32 v48, v21 offset:2176                           // 000000003B60: D86C0880 30000015
	ds_read_b32 v49, v21 offset:2240                           // 000000003B68: D86C08C0 31000015
	s_mul_i32 s60, s65, 4                                      // 000000003B70: 923C8441
	s_add_u32 s8, s60, s8                                      // 000000003B74: 8008083C
	s_addc_u32 s9, 0, s9                                       // 000000003B78: 82090980
	s_waitcnt lgkmcnt(0)                                       // 000000003B7C: BF8CC07F
	v_mov_b32_e32 v7, 0                                        // 000000003B80: 7E0E0280
	s_mov_b64 exec, s[36:37]                                   // 000000003B84: BEFE0124
	v_mov_b32_e32 v6, v32                                      // 000000003B88: 7E0C0320
	s_mov_b64 s[60:61], 0                                      // 000000003B8C: BEBC0180
	v_readlane_b32 s82, v3, 0                                  // 000000003B90: D2890052 00010103
	s_and_b32 s82, s82, 0xffffff                               // 000000003B98: 8652FF52 00FFFFFF
	s_cmp_lt_u32 s82, s66                                      // 000000003BA0: BF0A4252
	s_cselect_b32 s20, s36, s60                                // 000000003BA4: 85143C24
	v_readlane_b32 s82, v3, 1                                  // 000000003BA8: D2890052 00010303
	s_and_b32 s82, s82, 0xffffff                               // 000000003BB0: 8652FF52 00FFFFFF
	s_cmp_lt_u32 s82, s66                                      // 000000003BB8: BF0A4252
	s_cselect_b32 s21, s36, s60                                // 000000003BBC: 85153C24
	s_mov_b64 exec, s[20:21]                                   // 000000003BC0: BEFE0114
	global_atomic_add_f32 v6, v44, s[8:9]                      // 000000003BC4: DD348000 00082C06
	global_atomic_add_f32 v6, v48, s[8:9] offset:256           // 000000003BCC: DD348100 00083006
	s_mov_b64 exec, s[36:37]                                   // 000000003BD4: BEFE0124
	v_mov_b32_e32 v6, v33                                      // 000000003BD8: 7E0C0321
	s_mov_b64 s[60:61], 0                                      // 000000003BDC: BEBC0180
	v_readlane_b32 s82, v3, 2                                  // 000000003BE0: D2890052 00010503
	s_and_b32 s82, s82, 0xffffff                               // 000000003BE8: 8652FF52 00FFFFFF
	s_cmp_lt_u32 s82, s66                                      // 000000003BF0: BF0A4252
	s_cselect_b32 s20, s36, s60                                // 000000003BF4: 85143C24
	v_readlane_b32 s82, v3, 3                                  // 000000003BF8: D2890052 00010703
	s_and_b32 s82, s82, 0xffffff                               // 000000003C00: 8652FF52 00FFFFFF
	s_cmp_lt_u32 s82, s66                                      // 000000003C08: BF0A4252
	s_cselect_b32 s21, s36, s60                                // 000000003C0C: 85153C24
	s_mov_b64 exec, s[20:21]                                   // 000000003C10: BEFE0114
	global_atomic_add_f32 v6, v45, s[8:9]                      // 000000003C14: DD348000 00082D06
	global_atomic_add_f32 v6, v49, s[8:9] offset:256           // 000000003C1C: DD348100 00083106
	s_mov_b64 exec, s[36:37]                                   // 000000003C24: BEFE0124
	ds_write_b64 v20, v[46:47]                                 // 000000003C28: D89A0000 00002E14
	ds_write_b64 v20, v[50:51] offset:2176                     // 000000003C30: D89A0880 00003214
	s_waitcnt lgkmcnt(0)                                       // 000000003C38: BF8CC07F
	s_barrier                                                  // 000000003C3C: BF8A0000
	ds_read_b32 v46, v21                                       // 000000003C40: D86C0000 2E000015
	ds_read_b32 v47, v21 offset:64                             // 000000003C48: D86C0040 2F000015
	ds_read_b32 v50, v21 offset:2176                           // 000000003C50: D86C0880 32000015
	ds_read_b32 v51, v21 offset:2240                           // 000000003C58: D86C08C0 33000015
	s_waitcnt lgkmcnt(0)                                       // 000000003C60: BF8CC07F
	v_mov_b32_e32 v7, 0                                        // 000000003C64: 7E0E0280
	s_mov_b64 exec, s[36:37]                                   // 000000003C68: BEFE0124
	v_mov_b32_e32 v6, v32                                      // 000000003C6C: 7E0C0320
	s_mov_b64 s[60:61], 0                                      // 000000003C70: BEBC0180
	v_readlane_b32 s82, v3, 0                                  // 000000003C74: D2890052 00010103
	s_and_b32 s82, s82, 0xffffff                               // 000000003C7C: 8652FF52 00FFFFFF
	s_cmp_lt_u32 s82, s66                                      // 000000003C84: BF0A4252
	s_cselect_b32 s20, s36, s60                                // 000000003C88: 85143C24
	v_readlane_b32 s82, v3, 1                                  // 000000003C8C: D2890052 00010303
	s_and_b32 s82, s82, 0xffffff                               // 000000003C94: 8652FF52 00FFFFFF
	s_cmp_lt_u32 s82, s66                                      // 000000003C9C: BF0A4252
	s_cselect_b32 s21, s36, s60                                // 000000003CA0: 85153C24
	s_mov_b64 exec, s[20:21]                                   // 000000003CA4: BEFE0114
	global_atomic_add_f32 v6, v46, s[8:9] offset:8             // 000000003CA8: DD348008 00082E06
	global_atomic_add_f32 v6, v50, s[8:9] offset:264           // 000000003CB0: DD348108 00083206
	s_mov_b64 exec, s[36:37]                                   // 000000003CB8: BEFE0124
	v_mov_b32_e32 v6, v33                                      // 000000003CBC: 7E0C0321
	s_mov_b64 s[60:61], 0                                      // 000000003CC0: BEBC0180
	v_readlane_b32 s82, v3, 2                                  // 000000003CC4: D2890052 00010503
	s_and_b32 s82, s82, 0xffffff                               // 000000003CCC: 8652FF52 00FFFFFF
	s_cmp_lt_u32 s82, s66                                      // 000000003CD4: BF0A4252
	s_cselect_b32 s20, s36, s60                                // 000000003CD8: 85143C24
	v_readlane_b32 s82, v3, 3                                  // 000000003CDC: D2890052 00010703
	s_and_b32 s82, s82, 0xffffff                               // 000000003CE4: 8652FF52 00FFFFFF
	s_cmp_lt_u32 s82, s66                                      // 000000003CEC: BF0A4252
	s_cselect_b32 s21, s36, s60                                // 000000003CF0: 85153C24
	s_mov_b64 exec, s[20:21]                                   // 000000003CF4: BEFE0114
	global_atomic_add_f32 v6, v47, s[8:9] offset:8             // 000000003CF8: DD348008 00082F06
	global_atomic_add_f32 v6, v51, s[8:9] offset:264           // 000000003D00: DD348108 00083306
	s_mov_b64 exec, s[36:37]                                   // 000000003D08: BEFE0124
	s_branch label_0813                                        // 000000003D0C: BF82034C

0000000000003d10 <label_04C7>:
	s_waitcnt vmcnt(2) lgkmcnt(0)                              // 000000003D10: BF8C0072
	s_barrier                                                  // 000000003D14: BF8A0000
	v_mfma_f32_16x16x32_fp8_fp8 v[36:39], a[16:17], a[0:1], v[36:39]// 000000003D18: D3F30024 1C920110
	buffer_load_dwordx4 a[32:35], v34, s[84:87], 0 offen       // 000000003D20: E05C1000 80952022
	v_mfma_f32_16x16x32_fp8_fp8 v[36:39], a[18:19], a[2:3], v[36:39]// 000000003D28: D3F30024 1C920512
	v_mfma_f32_16x16x32_fp8_fp8 v[36:39], a[20:21], a[4:5], v[36:39]// 000000003D30: D3F30024 1C920914
	v_mfma_f32_16x16x32_fp8_fp8 v[36:39], a[22:23], a[6:7], v[36:39]// 000000003D38: D3F30024 1C920D16
	s_waitcnt vmcnt(1)                                         // 000000003D40: BF8C0F71
	v_mfma_f32_16x16x32_fp8_fp8 v[40:43], a[24:25], a[0:1], v[40:43]// 000000003D44: D3F30028 1CA20118
	buffer_load_dwordx4 a[36:39], v34, s[84:87], 0 offen offset:1024// 000000003D4C: E05C1400 80952422
	v_mfma_f32_16x16x32_fp8_fp8 v[40:43], a[26:27], a[2:3], v[40:43]// 000000003D54: D3F30028 1CA2051A
	s_add_u32 s60, 0x80, s80                                   // 000000003D5C: 803C50FF 00000080
	s_cmp_lt_u32 s60, s81                                      // 000000003D64: BF0A513C
	s_cselect_b32 s83, s83, 0                                  // 000000003D68: 85538053
	v_mfma_f32_16x16x32_fp8_fp8 v[40:43], a[28:29], a[4:5], v[40:43]// 000000003D6C: D3F30028 1CA2091C
	v_mfma_f32_16x16x32_fp8_fp8 v[40:43], a[30:31], a[6:7], v[40:43]// 000000003D74: D3F30028 1CA20D1E
	buffer_load_dwordx4 a[40:43], v35, s[84:87], 0 offen       // 000000003D7C: E05C1000 80952823
	buffer_load_dwordx4 a[44:47], v35, s[84:87], 0 offen offset:1024// 000000003D84: E05C1400 80952C23
	buffer_load_dword v32, s[20:23], 0 offen lds               // 000000003D8C: E0511000 80050020
	s_add_u32 m0, 0x100, s48                                   // 000000003D94: 807C30FF 00000100
	buffer_load_dword v33, s[20:23], 0 offen lds               // 000000003D9C: E0511000 80050021
	s_add_u32 m0, 0, s49                                       // 000000003DA4: 807C3180
	s_waitcnt vmcnt(2)                                         // 000000003DA8: BF8C0F72
	v_mfma_f32_16x16x32_fp8_fp8 v[44:47], a[32:33], a[0:1], v[44:47]// 000000003DAC: D3F3002C 1CB20120
	buffer_load_dwordx4 a[16:19], v34, s[24:27], 0 offen       // 000000003DB4: E05C1000 80861022
	v_mfma_f32_16x16x32_fp8_fp8 v[44:47], a[34:35], a[2:3], v[44:47]// 000000003DBC: D3F3002C 1CB20522
	v_mfma_f32_16x16x32_fp8_fp8 v[44:47], a[36:37], a[4:5], v[44:47]// 000000003DC4: D3F3002C 1CB20924
	ds_read_b128 a[8:11], v2 offset:2176                       // 000000003DCC: DBFE0880 08000002
	ds_read_b128 a[12:15], v2 offset:2240                      // 000000003DD4: DBFE08C0 0C000002
	s_add_u32 s60, 0x180, s80                                  // 000000003DDC: 803C50FF 00000180
	s_cmp_lt_u32 s60, s81                                      // 000000003DE4: BF0A513C
	s_cselect_b32 s57, s57, 0                                  // 000000003DE8: 85398039
	v_mfma_f32_16x16x32_fp8_fp8 v[44:47], a[38:39], a[6:7], v[44:47]// 000000003DEC: D3F3002C 1CB20D26
	s_add_u32 s60, 0x100, s80                                  // 000000003DF4: 803C50FF 00000100
	s_cmp_lt_u32 s60, s81                                      // 000000003DFC: BF0A513C
	s_cselect_b32 s58, s58, 0                                  // 000000003E00: 853A803A
	v_mfma_f32_16x16x32_fp8_fp8 v[48:51], a[40:41], a[0:1], v[48:51]// 000000003E04: D3F30030 1CC20128
	buffer_load_dwordx4 a[20:23], v34, s[24:27], 0 offen offset:1024// 000000003E0C: E05C1400 80861422
	v_mfma_f32_16x16x32_fp8_fp8 v[48:51], a[42:43], a[2:3], v[48:51]// 000000003E14: D3F30030 1CC2052A
	s_add_u32 s20, s57, s20                                    // 000000003E1C: 80141439
	s_addc_u32 s21, 0, s21                                     // 000000003E20: 82151580
	v_mfma_f32_16x16x32_fp8_fp8 v[48:51], a[44:45], a[4:5], v[48:51]// 000000003E24: D3F30030 1CC2092C
	s_add_u32 s84, s83, s84                                    // 000000003E2C: 80545453
	s_addc_u32 s85, 0, s85                                     // 000000003E30: 82555580
	v_mfma_f32_16x16x32_fp8_fp8 v[48:51], a[46:47], a[6:7], v[48:51]// 000000003E34: D3F30030 1CC20D2E
	buffer_load_dwordx4 a[24:27], v35, s[24:27], 0 offen       // 000000003E3C: E05C1000 80861823
	buffer_load_dwordx4 a[28:31], v35, s[24:27], 0 offen offset:1024// 000000003E44: E05C1400 80861C23
	s_add_u32 s24, s58, s24                                    // 000000003E4C: 8018183A
	s_addc_u32 s25, 0, s25                                     // 000000003E50: 82191980
	s_addk_i32 s80, 0x80                                       // 000000003E54: B7500080
	s_cmp_lt_i32 s80, s81                                      // 000000003E58: BF045150
	s_cbranch_scc0 label_0570                                  // 000000003E5C: BF840055
	s_waitcnt vmcnt(2) lgkmcnt(0)                              // 000000003E60: BF8C0072
	s_barrier                                                  // 000000003E64: BF8A0000
	v_mfma_f32_16x16x32_fp8_fp8 v[36:39], a[16:17], a[8:9], v[36:39]// 000000003E68: D3F30024 1C921110
	buffer_load_dwordx4 a[32:35], v34, s[84:87], 0 offen       // 000000003E70: E05C1000 80952022
	v_mfma_f32_16x16x32_fp8_fp8 v[36:39], a[18:19], a[10:11], v[36:39]// 000000003E78: D3F30024 1C921512
	v_mfma_f32_16x16x32_fp8_fp8 v[36:39], a[20:21], a[12:13], v[36:39]// 000000003E80: D3F30024 1C921914
	v_mfma_f32_16x16x32_fp8_fp8 v[36:39], a[22:23], a[14:15], v[36:39]// 000000003E88: D3F30024 1C921D16
	s_waitcnt vmcnt(1)                                         // 000000003E90: BF8C0F71
	v_mfma_f32_16x16x32_fp8_fp8 v[40:43], a[24:25], a[8:9], v[40:43]// 000000003E94: D3F30028 1CA21118
	buffer_load_dwordx4 a[36:39], v34, s[84:87], 0 offen offset:1024// 000000003E9C: E05C1400 80952422
	v_mfma_f32_16x16x32_fp8_fp8 v[40:43], a[26:27], a[10:11], v[40:43]// 000000003EA4: D3F30028 1CA2151A
	s_add_u32 s60, 0x80, s80                                   // 000000003EAC: 803C50FF 00000080
	s_cmp_lt_u32 s60, s81                                      // 000000003EB4: BF0A513C
	s_cselect_b32 s83, s83, 0                                  // 000000003EB8: 85538053
	v_mfma_f32_16x16x32_fp8_fp8 v[40:43], a[28:29], a[12:13], v[40:43]// 000000003EBC: D3F30028 1CA2191C
	v_mfma_f32_16x16x32_fp8_fp8 v[40:43], a[30:31], a[14:15], v[40:43]// 000000003EC4: D3F30028 1CA21D1E
	buffer_load_dwordx4 a[40:43], v35, s[84:87], 0 offen       // 000000003ECC: E05C1000 80952823
	buffer_load_dwordx4 a[44:47], v35, s[84:87], 0 offen offset:1024// 000000003ED4: E05C1400 80952C23
	buffer_load_dword v32, s[20:23], 0 offen lds               // 000000003EDC: E0511000 80050020
	s_add_u32 m0, 0x100, s49                                   // 000000003EE4: 807C31FF 00000100
	buffer_load_dword v33, s[20:23], 0 offen lds               // 000000003EEC: E0511000 80050021
	s_add_u32 m0, 0, s48                                       // 000000003EF4: 807C3080
	s_waitcnt vmcnt(2)                                         // 000000003EF8: BF8C0F72
	v_mfma_f32_16x16x32_fp8_fp8 v[44:47], a[32:33], a[8:9], v[44:47]// 000000003EFC: D3F3002C 1CB21120
	buffer_load_dwordx4 a[16:19], v34, s[24:27], 0 offen       // 000000003F04: E05C1000 80861022
	v_mfma_f32_16x16x32_fp8_fp8 v[44:47], a[34:35], a[10:11], v[44:47]// 000000003F0C: D3F3002C 1CB21522
	v_mfma_f32_16x16x32_fp8_fp8 v[44:47], a[36:37], a[12:13], v[44:47]// 000000003F14: D3F3002C 1CB21924
	ds_read_b128 a[0:3], v2                                    // 000000003F1C: DBFE0000 00000002
	ds_read_b128 a[4:7], v2 offset:64                          // 000000003F24: DBFE0040 04000002
	s_add_u32 s60, 0x180, s80                                  // 000000003F2C: 803C50FF 00000180
	s_cmp_lt_u32 s60, s81                                      // 000000003F34: BF0A513C
	s_cselect_b32 s57, s57, 0                                  // 000000003F38: 85398039
	v_mfma_f32_16x16x32_fp8_fp8 v[44:47], a[38:39], a[14:15], v[44:47]// 000000003F3C: D3F3002C 1CB21D26
	s_add_u32 s60, 0x100, s80                                  // 000000003F44: 803C50FF 00000100
	s_cmp_lt_u32 s60, s81                                      // 000000003F4C: BF0A513C
	s_cselect_b32 s58, s58, 0                                  // 000000003F50: 853A803A
	v_mfma_f32_16x16x32_fp8_fp8 v[48:51], a[40:41], a[8:9], v[48:51]// 000000003F54: D3F30030 1CC21128
	buffer_load_dwordx4 a[20:23], v34, s[24:27], 0 offen offset:1024// 000000003F5C: E05C1400 80861422
	v_mfma_f32_16x16x32_fp8_fp8 v[48:51], a[42:43], a[10:11], v[48:51]// 000000003F64: D3F30030 1CC2152A
	s_add_u32 s20, s57, s20                                    // 000000003F6C: 80141439
	s_addc_u32 s21, 0, s21                                     // 000000003F70: 82151580
	v_mfma_f32_16x16x32_fp8_fp8 v[48:51], a[44:45], a[12:13], v[48:51]// 000000003F74: D3F30030 1CC2192C
	s_add_u32 s84, s83, s84                                    // 000000003F7C: 80545453
	s_addc_u32 s85, 0, s85                                     // 000000003F80: 82555580
	v_mfma_f32_16x16x32_fp8_fp8 v[48:51], a[46:47], a[14:15], v[48:51]// 000000003F84: D3F30030 1CC21D2E
	buffer_load_dwordx4 a[24:27], v35, s[24:27], 0 offen       // 000000003F8C: E05C1000 80861823
	buffer_load_dwordx4 a[28:31], v35, s[24:27], 0 offen offset:1024// 000000003F94: E05C1400 80861C23
	s_add_u32 s24, s58, s24                                    // 000000003F9C: 8018183A
	s_addc_u32 s25, 0, s25                                     // 000000003FA0: 82191980
	s_addk_i32 s80, 0x80                                       // 000000003FA4: B7500080
	s_cmp_lt_i32 s80, s81                                      // 000000003FA8: BF045150
	s_cbranch_scc0 label_0570                                  // 000000003FAC: BF840001
	s_branch label_04C7                                        // 000000003FB0: BF82FF57

0000000000003fb4 <label_0570>:
	v_mul_f32_dpp v36, v24, v36 row_newbcast:0 row_mask:0xf bank_mask:0xf// 000000003FB4: 0A4848FA FF015018
	v_mul_f32_dpp v37, v24, v37 row_newbcast:1 row_mask:0xf bank_mask:0xf// 000000003FBC: 0A4A4AFA FF015118
	v_mul_f32_dpp v38, v24, v38 row_newbcast:2 row_mask:0xf bank_mask:0xf// 000000003FC4: 0A4C4CFA FF015218
	v_mul_f32_dpp v39, v24, v39 row_newbcast:3 row_mask:0xf bank_mask:0xf// 000000003FCC: 0A4E4EFA FF015318
	v_mul_f32_dpp v40, v24, v40 row_newbcast:4 row_mask:0xf bank_mask:0xf// 000000003FD4: 0A5050FA FF015418
	v_mul_f32_dpp v41, v24, v41 row_newbcast:5 row_mask:0xf bank_mask:0xf// 000000003FDC: 0A5252FA FF015518
	v_mul_f32_dpp v42, v24, v42 row_newbcast:6 row_mask:0xf bank_mask:0xf// 000000003FE4: 0A5454FA FF015618
	v_mul_f32_dpp v43, v24, v43 row_newbcast:7 row_mask:0xf bank_mask:0xf// 000000003FEC: 0A5656FA FF015718
	v_mul_f32_dpp v44, v26, v44 row_newbcast:0 row_mask:0xf bank_mask:0xf// 000000003FF4: 0A5858FA FF01501A
	v_mul_f32_dpp v45, v26, v45 row_newbcast:1 row_mask:0xf bank_mask:0xf// 000000003FFC: 0A5A5AFA FF01511A
	v_mul_f32_dpp v46, v26, v46 row_newbcast:2 row_mask:0xf bank_mask:0xf// 000000004004: 0A5C5CFA FF01521A
	v_mul_f32_dpp v47, v26, v47 row_newbcast:3 row_mask:0xf bank_mask:0xf// 00000000400C: 0A5E5EFA FF01531A
	v_mul_f32_dpp v48, v26, v48 row_newbcast:4 row_mask:0xf bank_mask:0xf// 000000004014: 0A6060FA FF01541A
	v_mul_f32_dpp v49, v26, v49 row_newbcast:5 row_mask:0xf bank_mask:0xf// 00000000401C: 0A6262FA FF01551A
	v_mul_f32_dpp v50, v26, v50 row_newbcast:6 row_mask:0xf bank_mask:0xf// 000000004024: 0A6464FA FF01561A
	v_mul_f32_dpp v51, v26, v51 row_newbcast:7 row_mask:0xf bank_mask:0xf// 00000000402C: 0A6666FA FF01571A
	v_mov_b32_e32 v4, v29                                      // 000000004034: 7E08031D
	v_mov_b32_e32 v5, v4                                       // 000000004038: 7E0A0304
	v_pk_mul_f32 v[36:37], v[4:5], v[36:37]                    // 00000000403C: D3B14024 18024904
	v_pk_mul_f32 v[44:45], v[4:5], v[44:45]                    // 000000004044: D3B1402C 18025904
	v_pk_mul_f32 v[38:39], v[4:5], v[38:39]                    // 00000000404C: D3B14026 18024D04
	v_pk_mul_f32 v[46:47], v[4:5], v[46:47]                    // 000000004054: D3B1402E 18025D04
	v_pk_mul_f32 v[40:41], v[4:5], v[40:41]                    // 00000000405C: D3B14028 18025104
	v_pk_mul_f32 v[48:49], v[4:5], v[48:49]                    // 000000004064: D3B14030 18026104
	v_pk_mul_f32 v[42:43], v[4:5], v[42:43]                    // 00000000406C: D3B1402A 18025504
	v_pk_mul_f32 v[50:51], v[4:5], v[50:51]                    // 000000004074: D3B14032 18026504
	s_cmp_eq_u32 s88, 0                                        // 00000000407C: BF068058
	s_cbranch_scc0 label_06ED                                  // 000000004080: BF840149
	s_cmp_eq_u32 s89, 0                                        // 000000004084: BF068059
	s_cbranch_scc1 label_05FB                                  // 000000004088: BF850055
	v_mov_b32_e32 v8, v1                                       // 00000000408C: 7E100301
	v_mov_b32_e32 v9, v1                                       // 000000004090: 7E120301
	s_mov_b32 s60, s6                                          // 000000004094: BEBC0006
	s_mov_b32 s61, s6                                          // 000000004098: BEBD0006
	v_pk_mul_f32 v[4:5], v[36:37], v[36:37]                    // 00000000409C: D3B14004 18024924
	v_pk_mul_f32 v[6:7], v[38:39], v[38:39]                    // 0000000040A4: D3B14006 18024D26
	v_pk_fma_f32 v[4:5], v[4:5], s[78:79], v[8:9]              // 0000000040AC: D3B04004 1C209D04
	v_pk_fma_f32 v[6:7], v[6:7], s[78:79], v[8:9]              // 0000000040B4: D3B04006 1C209D06
	v_pk_mul_f32 v[4:5], v[4:5], v[36:37]                      // 0000000040BC: D3B14004 18024904
	v_pk_mul_f32 v[6:7], v[6:7], v[38:39]                      // 0000000040C4: D3B14006 18024D06
	v_pk_mul_f32 v[4:5], v[4:5], s[60:61]                      // 0000000040CC: D3B14004 18007904
	v_pk_mul_f32 v[6:7], v[6:7], s[60:61]                      // 0000000040D4: D3B14006 18007906
	v_exp_f32_e32 v4, v4                                       // 0000000040DC: 7E084104
	v_exp_f32_e32 v5, v5                                       // 0000000040E0: 7E0A4105
	v_exp_f32_e32 v6, v6                                       // 0000000040E4: 7E0C4106
	v_exp_f32_e32 v7, v7                                       // 0000000040E8: 7E0E4107
	v_add_f32_e64 v4, v4, 1.0                                  // 0000000040EC: D1010004 0001E504
	v_add_f32_e64 v5, v5, 1.0                                  // 0000000040F4: D1010005 0001E505
	v_add_f32_e64 v6, v6, 1.0                                  // 0000000040FC: D1010006 0001E506
	v_add_f32_e64 v7, v7, 1.0                                  // 000000004104: D1010007 0001E507
	v_rcp_f32_e32 v4, v4                                       // 00000000410C: 7E084504
	v_rcp_f32_e32 v5, v5                                       // 000000004110: 7E0A4505
	v_rcp_f32_e32 v6, v6                                       // 000000004114: 7E0C4506
	v_rcp_f32_e32 v7, v7                                       // 000000004118: 7E0E4507
	v_mul_f32_e32 v36, v36, v4                                 // 00000000411C: 0A480924
	v_mul_f32_e32 v37, v37, v5                                 // 000000004120: 0A4A0B25
	v_mul_f32_e32 v38, v38, v6                                 // 000000004124: 0A4C0D26
	v_mul_f32_e32 v39, v39, v7                                 // 000000004128: 0A4E0F27
	v_mul_f32_e32 v36, v36, v44                                // 00000000412C: 0A485924
	v_mul_f32_e32 v37, v37, v45                                // 000000004130: 0A4A5B25
	v_mul_f32_e32 v38, v38, v46                                // 000000004134: 0A4C5D26
	v_mul_f32_e32 v39, v39, v47                                // 000000004138: 0A4E5F27
	v_pk_mul_f32 v[4:5], v[40:41], v[40:41]                    // 00000000413C: D3B14004 18025128
	v_pk_mul_f32 v[6:7], v[42:43], v[42:43]                    // 000000004144: D3B14006 1802552A
	v_pk_fma_f32 v[4:5], v[4:5], s[78:79], v[8:9]              // 00000000414C: D3B04004 1C209D04
	v_pk_fma_f32 v[6:7], v[6:7], s[78:79], v[8:9]              // 000000004154: D3B04006 1C209D06
	v_pk_mul_f32 v[4:5], v[4:5], v[40:41]                      // 00000000415C: D3B14004 18025104
	v_pk_mul_f32 v[6:7], v[6:7], v[42:43]                      // 000000004164: D3B14006 18025506
	v_pk_mul_f32 v[4:5], v[4:5], s[60:61]                      // 00000000416C: D3B14004 18007904
	v_pk_mul_f32 v[6:7], v[6:7], s[60:61]                      // 000000004174: D3B14006 18007906
	v_exp_f32_e32 v4, v4                                       // 00000000417C: 7E084104
	v_exp_f32_e32 v5, v5                                       // 000000004180: 7E0A4105
	v_exp_f32_e32 v6, v6                                       // 000000004184: 7E0C4106
	v_exp_f32_e32 v7, v7                                       // 000000004188: 7E0E4107
	v_add_f32_e64 v4, v4, 1.0                                  // 00000000418C: D1010004 0001E504
	v_add_f32_e64 v5, v5, 1.0                                  // 000000004194: D1010005 0001E505
	v_add_f32_e64 v6, v6, 1.0                                  // 00000000419C: D1010006 0001E506
	v_add_f32_e64 v7, v7, 1.0                                  // 0000000041A4: D1010007 0001E507
	v_rcp_f32_e32 v4, v4                                       // 0000000041AC: 7E084504
	v_rcp_f32_e32 v5, v5                                       // 0000000041B0: 7E0A4505
	v_rcp_f32_e32 v6, v6                                       // 0000000041B4: 7E0C4506
	v_rcp_f32_e32 v7, v7                                       // 0000000041B8: 7E0E4507
	v_mul_f32_e32 v40, v40, v4                                 // 0000000041BC: 0A500928
	v_mul_f32_e32 v41, v41, v5                                 // 0000000041C0: 0A520B29
	v_mul_f32_e32 v42, v42, v6                                 // 0000000041C4: 0A540D2A
	v_mul_f32_e32 v43, v43, v7                                 // 0000000041C8: 0A560F2B
	v_mul_f32_e32 v40, v40, v48                                // 0000000041CC: 0A506128
	v_mul_f32_e32 v41, v41, v49                                // 0000000041D0: 0A526329
	v_mul_f32_e32 v42, v42, v50                                // 0000000041D4: 0A54652A
	v_mul_f32_e32 v43, v43, v51                                // 0000000041D8: 0A56672B
	s_branch label_063B                                        // 0000000041DC: BF820040

00000000000041e0 <label_05FB>:
	v_mul_f32_e64 v4, -v36, s6                                 // 0000000041E0: D1050004 20000D24
	v_mul_f32_e64 v5, -v37, s6                                 // 0000000041E8: D1050005 20000D25
	v_mul_f32_e64 v6, -v38, s6                                 // 0000000041F0: D1050006 20000D26
	v_mul_f32_e64 v7, -v39, s6                                 // 0000000041F8: D1050007 20000D27
	v_exp_f32_e32 v4, v4                                       // 000000004200: 7E084104
	v_exp_f32_e32 v5, v5                                       // 000000004204: 7E0A4105
	v_exp_f32_e32 v6, v6                                       // 000000004208: 7E0C4106
	v_exp_f32_e32 v7, v7                                       // 00000000420C: 7E0E4107
	v_add_f32_e64 v4, v4, 1.0                                  // 000000004210: D1010004 0001E504
	v_add_f32_e64 v5, v5, 1.0                                  // 000000004218: D1010005 0001E505
	v_add_f32_e64 v6, v6, 1.0                                  // 000000004220: D1010006 0001E506
	v_add_f32_e64 v7, v7, 1.0                                  // 000000004228: D1010007 0001E507
	v_rcp_f32_e32 v4, v4                                       // 000000004230: 7E084504
	v_rcp_f32_e32 v5, v5                                       // 000000004234: 7E0A4505
	v_rcp_f32_e32 v6, v6                                       // 000000004238: 7E0C4506
	v_rcp_f32_e32 v7, v7                                       // 00000000423C: 7E0E4507
	v_mul_f32_e32 v36, v36, v4                                 // 000000004240: 0A480924
	v_mul_f32_e32 v37, v37, v5                                 // 000000004244: 0A4A0B25
	v_mul_f32_e32 v38, v38, v6                                 // 000000004248: 0A4C0D26
	v_mul_f32_e32 v39, v39, v7                                 // 00000000424C: 0A4E0F27
	v_mul_f32_e32 v36, v36, v44                                // 000000004250: 0A485924
	v_mul_f32_e32 v37, v37, v45                                // 000000004254: 0A4A5B25
	v_mul_f32_e32 v38, v38, v46                                // 000000004258: 0A4C5D26
	v_mul_f32_e32 v39, v39, v47                                // 00000000425C: 0A4E5F27
	v_mul_f32_e64 v4, -v40, s6                                 // 000000004260: D1050004 20000D28
	v_mul_f32_e64 v5, -v41, s6                                 // 000000004268: D1050005 20000D29
	v_mul_f32_e64 v6, -v42, s6                                 // 000000004270: D1050006 20000D2A
	v_mul_f32_e64 v7, -v43, s6                                 // 000000004278: D1050007 20000D2B
	v_exp_f32_e32 v4, v4                                       // 000000004280: 7E084104
	v_exp_f32_e32 v5, v5                                       // 000000004284: 7E0A4105
	v_exp_f32_e32 v6, v6                                       // 000000004288: 7E0C4106
	v_exp_f32_e32 v7, v7                                       // 00000000428C: 7E0E4107
	v_add_f32_e64 v4, v4, 1.0                                  // 000000004290: D1010004 0001E504
	v_add_f32_e64 v5, v5, 1.0                                  // 000000004298: D1010005 0001E505
	v_add_f32_e64 v6, v6, 1.0                                  // 0000000042A0: D1010006 0001E506
	v_add_f32_e64 v7, v7, 1.0                                  // 0000000042A8: D1010007 0001E507
	v_rcp_f32_e32 v4, v4                                       // 0000000042B0: 7E084504
	v_rcp_f32_e32 v5, v5                                       // 0000000042B4: 7E0A4505
	v_rcp_f32_e32 v6, v6                                       // 0000000042B8: 7E0C4506
	v_rcp_f32_e32 v7, v7                                       // 0000000042BC: 7E0E4507
	v_mul_f32_e32 v40, v40, v4                                 // 0000000042C0: 0A500928
	v_mul_f32_e32 v41, v41, v5                                 // 0000000042C4: 0A520B29
	v_mul_f32_e32 v42, v42, v6                                 // 0000000042C8: 0A540D2A
	v_mul_f32_e32 v43, v43, v7                                 // 0000000042CC: 0A560F2B
	v_mul_f32_e32 v40, v40, v48                                // 0000000042D0: 0A506128
	v_mul_f32_e32 v41, v41, v49                                // 0000000042D4: 0A526329
	v_mul_f32_e32 v42, v42, v50                                // 0000000042D8: 0A54652A
	v_mul_f32_e32 v43, v43, v51                                // 0000000042DC: 0A56672B

00000000000042e0 <label_063B>:
	v_cmp_u_f32_e64 s[46:47], v36, v36                         // 0000000042E0: D048002E 00024924
	v_add3_u32 v16, v36, v19, 1                                // 0000000042E8: D1FF0010 02062724
	v_cndmask_b32_e64 v4, v16, v18, s[46:47]                   // 0000000042F0: D1000004 00BA2510
	v_cmp_u_f32_e64 s[46:47], v37, v37                         // 0000000042F8: D048002E 00024B25
	v_add3_u32 v16, v37, v19, 1                                // 000000004300: D1FF0010 02062725
	v_cndmask_b32_e64 v5, v16, v18, s[46:47]                   // 000000004308: D1000005 00BA2510
	v_perm_b32 v36, v5, v4, s52                                // 000000004310: D1ED0024 00D20905
	v_cmp_u_f32_e64 s[46:47], v38, v38                         // 000000004318: D048002E 00024D26
	v_add3_u32 v16, v38, v19, 1                                // 000000004320: D1FF0010 02062726
	v_cndmask_b32_e64 v4, v16, v18, s[46:47]                   // 000000004328: D1000004 00BA2510
	v_cmp_u_f32_e64 s[46:47], v39, v39                         // 000000004330: D048002E 00024F27
	v_add3_u32 v16, v39, v19, 1                                // 000000004338: D1FF0010 02062727
	v_cndmask_b32_e64 v5, v16, v18, s[46:47]                   // 000000004340: D1000005 00BA2510
	v_perm_b32 v37, v5, v4, s52                                // 000000004348: D1ED0025 00D20905
	v_cmp_u_f32_e64 s[46:47], v40, v40                         // 000000004350: D048002E 00025128
	v_add3_u32 v16, v40, v19, 1                                // 000000004358: D1FF0010 02062728
	v_cndmask_b32_e64 v4, v16, v18, s[46:47]                   // 000000004360: D1000004 00BA2510
	v_cmp_u_f32_e64 s[46:47], v41, v41                         // 000000004368: D048002E 00025329
	v_add3_u32 v16, v41, v19, 1                                // 000000004370: D1FF0010 02062729
	v_cndmask_b32_e64 v5, v16, v18, s[46:47]                   // 000000004378: D1000005 00BA2510
	v_perm_b32 v38, v5, v4, s52                                // 000000004380: D1ED0026 00D20905
	v_cmp_u_f32_e64 s[46:47], v42, v42                         // 000000004388: D048002E 0002552A
	v_add3_u32 v16, v42, v19, 1                                // 000000004390: D1FF0010 0206272A
	v_cndmask_b32_e64 v4, v16, v18, s[46:47]                   // 000000004398: D1000004 00BA2510
	v_cmp_u_f32_e64 s[46:47], v43, v43                         // 0000000043A0: D048002E 0002572B
	v_add3_u32 v16, v43, v19, 1                                // 0000000043A8: D1FF0010 0206272B
	v_cndmask_b32_e64 v5, v16, v18, s[46:47]                   // 0000000043B0: D1000005 00BA2510
	v_perm_b32 v39, v5, v4, s52                                // 0000000043B8: D1ED0027 00D20905
	ds_write_b64 v20, v[36:37]                                 // 0000000043C0: D89A0000 00002414
	ds_write_b64 v20, v[38:39] offset:2176                     // 0000000043C8: D89A0880 00002614
	v_lshrrev_b32_e32 v4, 5, v0                                // 0000000043D0: 20080085
	v_xor_b32_e32 v5, 1, v4                                    // 0000000043D4: 2A0A0881
	s_mul_i32 s60, s65, 2                                      // 0000000043D8: 923C8241
	s_cmp_eq_u32 s88, 0                                        // 0000000043DC: BF068058
	s_cselect_b32 s61, 1, 4                                    // 0000000043E0: 853D8481
	s_mul_i32 s60, s61, s60                                    // 0000000043E4: 923C3C3D
	v_readlane_b32 s82, v3, 0                                  // 0000000043E8: D2890052 00010103
	s_lshr_b32 s61, s82, 24                                    // 0000000043F0: 8F3D9852
	s_and_b32 s82, s82, 0xffffff                               // 0000000043F4: 8652FF52 00FFFFFF
	s_mul_i32 s82, s82, s71                                    // 0000000043FC: 92524752
	s_mul_i32 s61, s60, s61                                    // 000000004400: 923D3D3C
	s_add_u32 s82, s82, s61                                    // 000000004404: 80523D52
	v_mul_lo_u32 v6, v5, s82                                   // 000000004408: D2850006 0000A505
	v_readlane_b32 s82, v3, 1                                  // 000000004410: D2890052 00010303
	s_lshr_b32 s61, s82, 24                                    // 000000004418: 8F3D9852
	s_and_b32 s82, s82, 0xffffff                               // 00000000441C: 8652FF52 00FFFFFF
	s_mul_i32 s82, s82, s71                                    // 000000004424: 92524752
	s_mul_i32 s61, s60, s61                                    // 000000004428: 923D3D3C
	s_add_u32 s82, s82, s61                                    // 00000000442C: 80523D52
	v_mul_lo_u32 v7, v4, s82                                   // 000000004430: D2850007 0000A504
	v_add_u32_e32 v32, v6, v7                                  // 000000004438: 68400F06
	v_readlane_b32 s82, v3, 2                                  // 00000000443C: D2890052 00010503
	s_lshr_b32 s61, s82, 24                                    // 000000004444: 8F3D9852
	s_and_b32 s82, s82, 0xffffff                               // 000000004448: 8652FF52 00FFFFFF
	s_mul_i32 s82, s82, s71                                    // 000000004450: 92524752
	s_mul_i32 s61, s60, s61                                    // 000000004454: 923D3D3C
	s_add_u32 s82, s82, s61                                    // 000000004458: 80523D52
	v_mul_lo_u32 v6, v5, s82                                   // 00000000445C: D2850006 0000A505
	v_readlane_b32 s82, v3, 3                                  // 000000004464: D2890052 00010703
	s_lshr_b32 s61, s82, 24                                    // 00000000446C: 8F3D9852
	s_and_b32 s82, s82, 0xffffff                               // 000000004470: 8652FF52 00FFFFFF
	s_mul_i32 s82, s82, s71                                    // 000000004478: 92524752
	s_mul_i32 s61, s60, s61                                    // 00000000447C: 923D3D3C
	s_add_u32 s82, s82, s61                                    // 000000004480: 80523D52
	v_mul_lo_u32 v7, v4, s82                                   // 000000004484: D2850007 0000A504
	v_add_u32_e32 v33, v6, v7                                  // 00000000448C: 68420F06
	v_and_b32_e32 v4, 31, v0                                   // 000000004490: 2608009F
	v_lshrrev_b32_e32 v4, 1, v4                                // 000000004494: 20080881
	s_cmp_eq_u32 s88, 0                                        // 000000004498: BF068058
	s_cselect_b32 s61, 2, 4                                    // 00000000449C: 853D8482
	v_mul_lo_u32 v4, v4, s61                                   // 0000000044A0: D2850004 00007B04
	v_and_b32_e64 v5, v0, 1                                    // 0000000044A8: D1130005 00010300
	v_add_u32_e32 v4, v4, v5                                   // 0000000044B0: 68080B04
	v_lshlrev_b32_e32 v4, 2, v4                                // 0000000044B4: 24080882
	v_add_u32_e32 v32, v32, v4                                 // 0000000044B8: 68400920
	v_add_u32_e32 v33, v33, v4                                 // 0000000044BC: 68420921
	s_waitcnt lgkmcnt(0)                                       // 0000000044C0: BF8CC07F
	s_barrier                                                  // 0000000044C4: BF8A0000
	ds_read_b32 v36, v21                                       // 0000000044C8: D86C0000 24000015
	ds_read_b32 v37, v21 offset:64                             // 0000000044D0: D86C0040 25000015
	ds_read_b32 v38, v21 offset:2176                           // 0000000044D8: D86C0880 26000015
	ds_read_b32 v39, v21 offset:2240                           // 0000000044E0: D86C08C0 27000015
	s_waitcnt lgkmcnt(0)                                       // 0000000044E8: BF8CC07F
	s_mov_b32 s36, -1                                          // 0000000044EC: BEA400C1
	s_mov_b32 s37, -1                                          // 0000000044F0: BEA500C1
	v_mov_b32_e32 v7, 0                                        // 0000000044F4: 7E0E0280
	s_or_b32 s9, s9, 0x40000                                   // 0000000044F8: 8709FF09 00040000
	s_mov_b64 exec, s[36:37]                                   // 000000004500: BEFE0124
	v_mov_b32_e32 v6, v32                                      // 000000004504: 7E0C0320
	s_mov_b64 s[60:61], 0                                      // 000000004508: BEBC0180
	v_readlane_b32 s82, v3, 0                                  // 00000000450C: D2890052 00010103
	s_and_b32 s82, s82, 0xffffff                               // 000000004514: 8652FF52 00FFFFFF
	s_cmp_lt_u32 s82, s66                                      // 00000000451C: BF0A4252
	s_cselect_b32 s20, s36, s60                                // 000000004520: 85143C24
	v_readlane_b32 s82, v3, 1                                  // 000000004524: D2890052 00010303
	s_and_b32 s82, s82, 0xffffff                               // 00000000452C: 8652FF52 00FFFFFF
	s_cmp_lt_u32 s82, s66                                      // 000000004534: BF0A4252
	s_cselect_b32 s21, s36, s60                                // 000000004538: 85153C24
	s_mov_b64 exec, s[20:21]                                   // 00000000453C: BEFE0114
	buffer_store_dword v36, v6, s[8:11], 0 offen               // 000000004540: E0701000 80022406
	buffer_store_dword v38, v6, s[8:11], 0 offen offset:128    // 000000004548: E0701080 80022606
	s_mov_b64 exec, s[36:37]                                   // 000000004550: BEFE0124
	v_mov_b32_e32 v6, v33                                      // 000000004554: 7E0C0321
	s_mov_b64 s[60:61], 0                                      // 000000004558: BEBC0180
	v_readlane_b32 s82, v3, 2                                  // 00000000455C: D2890052 00010503
	s_and_b32 s82, s82, 0xffffff                               // 000000004564: 8652FF52 00FFFFFF
	s_cmp_lt_u32 s82, s66                                      // 00000000456C: BF0A4252
	s_cselect_b32 s20, s36, s60                                // 000000004570: 85143C24
	v_readlane_b32 s82, v3, 3                                  // 000000004574: D2890052 00010703
	s_and_b32 s82, s82, 0xffffff                               // 00000000457C: 8652FF52 00FFFFFF
	s_cmp_lt_u32 s82, s66                                      // 000000004584: BF0A4252
	s_cselect_b32 s21, s36, s60                                // 000000004588: 85153C24
	s_mov_b64 exec, s[20:21]                                   // 00000000458C: BEFE0114
	buffer_store_dword v37, v6, s[8:11], 0 offen               // 000000004590: E0701000 80022506
	buffer_store_dword v39, v6, s[8:11], 0 offen offset:128    // 000000004598: E0701080 80022706
	s_mov_b64 exec, s[36:37]                                   // 0000000045A0: BEFE0124
	s_branch label_0813                                        // 0000000045A4: BF820126

00000000000045a8 <label_06ED>:
	ds_write_b64 v20, v[36:37]                                 // 0000000045A8: D89A0000 00002414
	ds_write_b64 v20, v[40:41] offset:2176                     // 0000000045B0: D89A0880 00002814
	v_lshrrev_b32_e32 v4, 5, v0                                // 0000000045B8: 20080085
	v_xor_b32_e32 v5, 1, v4                                    // 0000000045BC: 2A0A0881
	s_mul_i32 s60, s65, 2                                      // 0000000045C0: 923C8241
	s_cmp_eq_u32 s88, 0                                        // 0000000045C4: BF068058
	s_cselect_b32 s61, 1, 4                                    // 0000000045C8: 853D8481
	s_mul_i32 s60, s61, s60                                    // 0000000045CC: 923C3C3D
	v_readlane_b32 s82, v3, 0                                  // 0000000045D0: D2890052 00010103
	s_lshr_b32 s61, s82, 24                                    // 0000000045D8: 8F3D9852
	s_and_b32 s82, s82, 0xffffff                               // 0000000045DC: 8652FF52 00FFFFFF
	s_mul_i32 s82, s82, s71                                    // 0000000045E4: 92524752
	s_mul_i32 s61, s60, s61                                    // 0000000045E8: 923D3D3C
	s_add_u32 s82, s82, s61                                    // 0000000045EC: 80523D52
	v_mul_lo_u32 v6, v5, s82                                   // 0000000045F0: D2850006 0000A505
	v_readlane_b32 s82, v3, 1                                  // 0000000045F8: D2890052 00010303
	s_lshr_b32 s61, s82, 24                                    // 000000004600: 8F3D9852
	s_and_b32 s82, s82, 0xffffff                               // 000000004604: 8652FF52 00FFFFFF
	s_mul_i32 s82, s82, s71                                    // 00000000460C: 92524752
	s_mul_i32 s61, s60, s61                                    // 000000004610: 923D3D3C
	s_add_u32 s82, s82, s61                                    // 000000004614: 80523D52
	v_mul_lo_u32 v7, v4, s82                                   // 000000004618: D2850007 0000A504
	v_add_u32_e32 v32, v6, v7                                  // 000000004620: 68400F06
	v_readlane_b32 s82, v3, 2                                  // 000000004624: D2890052 00010503
	s_lshr_b32 s61, s82, 24                                    // 00000000462C: 8F3D9852
	s_and_b32 s82, s82, 0xffffff                               // 000000004630: 8652FF52 00FFFFFF
	s_mul_i32 s82, s82, s71                                    // 000000004638: 92524752
	s_mul_i32 s61, s60, s61                                    // 00000000463C: 923D3D3C
	s_add_u32 s82, s82, s61                                    // 000000004640: 80523D52
	v_mul_lo_u32 v6, v5, s82                                   // 000000004644: D2850006 0000A505
	v_readlane_b32 s82, v3, 3                                  // 00000000464C: D2890052 00010703
	s_lshr_b32 s61, s82, 24                                    // 000000004654: 8F3D9852
	s_and_b32 s82, s82, 0xffffff                               // 000000004658: 8652FF52 00FFFFFF
	s_mul_i32 s82, s82, s71                                    // 000000004660: 92524752
	s_mul_i32 s61, s60, s61                                    // 000000004664: 923D3D3C
	s_add_u32 s82, s82, s61                                    // 000000004668: 80523D52
	v_mul_lo_u32 v7, v4, s82                                   // 00000000466C: D2850007 0000A504
	v_add_u32_e32 v33, v6, v7                                  // 000000004674: 68420F06
	v_and_b32_e32 v4, 31, v0                                   // 000000004678: 2608009F
	v_lshrrev_b32_e32 v4, 1, v4                                // 00000000467C: 20080881
	s_cmp_eq_u32 s88, 0                                        // 000000004680: BF068058
	s_cselect_b32 s61, 2, 4                                    // 000000004684: 853D8482
	v_mul_lo_u32 v4, v4, s61                                   // 000000004688: D2850004 00007B04
	v_and_b32_e64 v5, v0, 1                                    // 000000004690: D1130005 00010300
	v_add_u32_e32 v4, v4, v5                                   // 000000004698: 68080B04
	v_lshlrev_b32_e32 v4, 2, v4                                // 00000000469C: 24080882
	v_add_u32_e32 v32, v32, v4                                 // 0000000046A0: 68400920
	v_add_u32_e32 v33, v33, v4                                 // 0000000046A4: 68420921
	s_waitcnt lgkmcnt(0)                                       // 0000000046A8: BF8CC07F
	s_barrier                                                  // 0000000046AC: BF8A0000
	ds_read_b32 v36, v21                                       // 0000000046B0: D86C0000 24000015
	ds_read_b32 v37, v21 offset:64                             // 0000000046B8: D86C0040 25000015
	ds_read_b32 v40, v21 offset:2176                           // 0000000046C0: D86C0880 28000015
	ds_read_b32 v41, v21 offset:2240                           // 0000000046C8: D86C08C0 29000015
	s_waitcnt lgkmcnt(0)                                       // 0000000046D0: BF8CC07F
	s_mov_b32 s36, -1                                          // 0000000046D4: BEA400C1
	s_mov_b32 s37, -1                                          // 0000000046D8: BEA500C1
	v_mov_b32_e32 v7, 0                                        // 0000000046DC: 7E0E0280
	s_mov_b64 exec, s[36:37]                                   // 0000000046E0: BEFE0124
	v_mov_b32_e32 v6, v32                                      // 0000000046E4: 7E0C0320
	s_mov_b64 s[60:61], 0                                      // 0000000046E8: BEBC0180
	v_readlane_b32 s82, v3, 0                                  // 0000000046EC: D2890052 00010103
	s_and_b32 s82, s82, 0xffffff                               // 0000000046F4: 8652FF52 00FFFFFF
	s_cmp_lt_u32 s82, s66                                      // 0000000046FC: BF0A4252
	s_cselect_b32 s20, s36, s60                                // 000000004700: 85143C24
	v_readlane_b32 s82, v3, 1                                  // 000000004704: D2890052 00010303
	s_and_b32 s82, s82, 0xffffff                               // 00000000470C: 8652FF52 00FFFFFF
	s_cmp_lt_u32 s82, s66                                      // 000000004714: BF0A4252
	s_cselect_b32 s21, s36, s60                                // 000000004718: 85153C24
	s_mov_b64 exec, s[20:21]                                   // 00000000471C: BEFE0114
	global_atomic_add_f32 v6, v36, s[8:9]                      // 000000004720: DD348000 00082406
	global_atomic_add_f32 v6, v40, s[8:9] offset:256           // 000000004728: DD348100 00082806
	s_mov_b64 exec, s[36:37]                                   // 000000004730: BEFE0124
	v_mov_b32_e32 v6, v33                                      // 000000004734: 7E0C0321
	s_mov_b64 s[60:61], 0                                      // 000000004738: BEBC0180
	v_readlane_b32 s82, v3, 2                                  // 00000000473C: D2890052 00010503
	s_and_b32 s82, s82, 0xffffff                               // 000000004744: 8652FF52 00FFFFFF
	s_cmp_lt_u32 s82, s66                                      // 00000000474C: BF0A4252
	s_cselect_b32 s20, s36, s60                                // 000000004750: 85143C24
	v_readlane_b32 s82, v3, 3                                  // 000000004754: D2890052 00010703
	s_and_b32 s82, s82, 0xffffff                               // 00000000475C: 8652FF52 00FFFFFF
	s_cmp_lt_u32 s82, s66                                      // 000000004764: BF0A4252
	s_cselect_b32 s21, s36, s60                                // 000000004768: 85153C24
	s_mov_b64 exec, s[20:21]                                   // 00000000476C: BEFE0114
	global_atomic_add_f32 v6, v37, s[8:9]                      // 000000004770: DD348000 00082506
	global_atomic_add_f32 v6, v41, s[8:9] offset:256           // 000000004778: DD348100 00082906
	s_mov_b64 exec, s[36:37]                                   // 000000004780: BEFE0124
	ds_write_b64 v20, v[38:39]                                 // 000000004784: D89A0000 00002614
	ds_write_b64 v20, v[42:43] offset:2176                     // 00000000478C: D89A0880 00002A14
	s_waitcnt lgkmcnt(0)                                       // 000000004794: BF8CC07F
	s_barrier                                                  // 000000004798: BF8A0000
	ds_read_b32 v38, v21                                       // 00000000479C: D86C0000 26000015
	ds_read_b32 v39, v21 offset:64                             // 0000000047A4: D86C0040 27000015
	ds_read_b32 v42, v21 offset:2176                           // 0000000047AC: D86C0880 2A000015
	ds_read_b32 v43, v21 offset:2240                           // 0000000047B4: D86C08C0 2B000015
	s_waitcnt lgkmcnt(0)                                       // 0000000047BC: BF8CC07F
	v_mov_b32_e32 v7, 0                                        // 0000000047C0: 7E0E0280
	s_mov_b64 exec, s[36:37]                                   // 0000000047C4: BEFE0124
	v_mov_b32_e32 v6, v32                                      // 0000000047C8: 7E0C0320
	s_mov_b64 s[60:61], 0                                      // 0000000047CC: BEBC0180
	v_readlane_b32 s82, v3, 0                                  // 0000000047D0: D2890052 00010103
	s_and_b32 s82, s82, 0xffffff                               // 0000000047D8: 8652FF52 00FFFFFF
	s_cmp_lt_u32 s82, s66                                      // 0000000047E0: BF0A4252
	s_cselect_b32 s20, s36, s60                                // 0000000047E4: 85143C24
	v_readlane_b32 s82, v3, 1                                  // 0000000047E8: D2890052 00010303
	s_and_b32 s82, s82, 0xffffff                               // 0000000047F0: 8652FF52 00FFFFFF
	s_cmp_lt_u32 s82, s66                                      // 0000000047F8: BF0A4252
	s_cselect_b32 s21, s36, s60                                // 0000000047FC: 85153C24
	s_mov_b64 exec, s[20:21]                                   // 000000004800: BEFE0114
	global_atomic_add_f32 v6, v38, s[8:9] offset:8             // 000000004804: DD348008 00082606
	global_atomic_add_f32 v6, v42, s[8:9] offset:264           // 00000000480C: DD348108 00082A06
	s_mov_b64 exec, s[36:37]                                   // 000000004814: BEFE0124
	v_mov_b32_e32 v6, v33                                      // 000000004818: 7E0C0321
	s_mov_b64 s[60:61], 0                                      // 00000000481C: BEBC0180
	v_readlane_b32 s82, v3, 2                                  // 000000004820: D2890052 00010503
	s_and_b32 s82, s82, 0xffffff                               // 000000004828: 8652FF52 00FFFFFF
	s_cmp_lt_u32 s82, s66                                      // 000000004830: BF0A4252
	s_cselect_b32 s20, s36, s60                                // 000000004834: 85143C24
	v_readlane_b32 s82, v3, 3                                  // 000000004838: D2890052 00010703
	s_and_b32 s82, s82, 0xffffff                               // 000000004840: 8652FF52 00FFFFFF
	s_cmp_lt_u32 s82, s66                                      // 000000004848: BF0A4252
	s_cselect_b32 s21, s36, s60                                // 00000000484C: 85153C24
	s_mov_b64 exec, s[20:21]                                   // 000000004850: BEFE0114
	global_atomic_add_f32 v6, v39, s[8:9] offset:8             // 000000004854: DD348008 00082706
	global_atomic_add_f32 v6, v43, s[8:9] offset:264           // 00000000485C: DD348108 00082B06
	s_mov_b64 exec, s[36:37]                                   // 000000004864: BEFE0124
	ds_write_b64 v20, v[44:45]                                 // 000000004868: D89A0000 00002C14
	ds_write_b64 v20, v[48:49] offset:2176                     // 000000004870: D89A0880 00003014
	s_waitcnt lgkmcnt(0)                                       // 000000004878: BF8CC07F
	s_barrier                                                  // 00000000487C: BF8A0000
	ds_read_b32 v44, v21                                       // 000000004880: D86C0000 2C000015
	ds_read_b32 v45, v21 offset:64                             // 000000004888: D86C0040 2D000015
	ds_read_b32 v48, v21 offset:2176                           // 000000004890: D86C0880 30000015
	ds_read_b32 v49, v21 offset:2240                           // 000000004898: D86C08C0 31000015
	s_mul_i32 s60, s65, 4                                      // 0000000048A0: 923C8441
	s_add_u32 s8, s60, s8                                      // 0000000048A4: 8008083C
	s_addc_u32 s9, 0, s9                                       // 0000000048A8: 82090980
	s_waitcnt lgkmcnt(0)                                       // 0000000048AC: BF8CC07F
	v_mov_b32_e32 v7, 0                                        // 0000000048B0: 7E0E0280
	s_mov_b64 exec, s[36:37]                                   // 0000000048B4: BEFE0124
	v_mov_b32_e32 v6, v32                                      // 0000000048B8: 7E0C0320
	s_mov_b64 s[60:61], 0                                      // 0000000048BC: BEBC0180
	v_readlane_b32 s82, v3, 0                                  // 0000000048C0: D2890052 00010103
	s_and_b32 s82, s82, 0xffffff                               // 0000000048C8: 8652FF52 00FFFFFF
	s_cmp_lt_u32 s82, s66                                      // 0000000048D0: BF0A4252
	s_cselect_b32 s20, s36, s60                                // 0000000048D4: 85143C24
	v_readlane_b32 s82, v3, 1                                  // 0000000048D8: D2890052 00010303
	s_and_b32 s82, s82, 0xffffff                               // 0000000048E0: 8652FF52 00FFFFFF
	s_cmp_lt_u32 s82, s66                                      // 0000000048E8: BF0A4252
	s_cselect_b32 s21, s36, s60                                // 0000000048EC: 85153C24
	s_mov_b64 exec, s[20:21]                                   // 0000000048F0: BEFE0114
	global_atomic_add_f32 v6, v44, s[8:9]                      // 0000000048F4: DD348000 00082C06
	global_atomic_add_f32 v6, v48, s[8:9] offset:256           // 0000000048FC: DD348100 00083006
	s_mov_b64 exec, s[36:37]                                   // 000000004904: BEFE0124
	v_mov_b32_e32 v6, v33                                      // 000000004908: 7E0C0321
	s_mov_b64 s[60:61], 0                                      // 00000000490C: BEBC0180
	v_readlane_b32 s82, v3, 2                                  // 000000004910: D2890052 00010503
	s_and_b32 s82, s82, 0xffffff                               // 000000004918: 8652FF52 00FFFFFF
	s_cmp_lt_u32 s82, s66                                      // 000000004920: BF0A4252
	s_cselect_b32 s20, s36, s60                                // 000000004924: 85143C24
	v_readlane_b32 s82, v3, 3                                  // 000000004928: D2890052 00010703
	s_and_b32 s82, s82, 0xffffff                               // 000000004930: 8652FF52 00FFFFFF
	s_cmp_lt_u32 s82, s66                                      // 000000004938: BF0A4252
	s_cselect_b32 s21, s36, s60                                // 00000000493C: 85153C24
	s_mov_b64 exec, s[20:21]                                   // 000000004940: BEFE0114
	global_atomic_add_f32 v6, v45, s[8:9]                      // 000000004944: DD348000 00082D06
	global_atomic_add_f32 v6, v49, s[8:9] offset:256           // 00000000494C: DD348100 00083106
	s_mov_b64 exec, s[36:37]                                   // 000000004954: BEFE0124
	ds_write_b64 v20, v[46:47]                                 // 000000004958: D89A0000 00002E14
	ds_write_b64 v20, v[50:51] offset:2176                     // 000000004960: D89A0880 00003214
	s_waitcnt lgkmcnt(0)                                       // 000000004968: BF8CC07F
	s_barrier                                                  // 00000000496C: BF8A0000
	ds_read_b32 v46, v21                                       // 000000004970: D86C0000 2E000015
	ds_read_b32 v47, v21 offset:64                             // 000000004978: D86C0040 2F000015
	ds_read_b32 v50, v21 offset:2176                           // 000000004980: D86C0880 32000015
	ds_read_b32 v51, v21 offset:2240                           // 000000004988: D86C08C0 33000015
	s_waitcnt lgkmcnt(0)                                       // 000000004990: BF8CC07F
	v_mov_b32_e32 v7, 0                                        // 000000004994: 7E0E0280
	s_mov_b64 exec, s[36:37]                                   // 000000004998: BEFE0124
	v_mov_b32_e32 v6, v32                                      // 00000000499C: 7E0C0320
	s_mov_b64 s[60:61], 0                                      // 0000000049A0: BEBC0180
	v_readlane_b32 s82, v3, 0                                  // 0000000049A4: D2890052 00010103
	s_and_b32 s82, s82, 0xffffff                               // 0000000049AC: 8652FF52 00FFFFFF
	s_cmp_lt_u32 s82, s66                                      // 0000000049B4: BF0A4252
	s_cselect_b32 s20, s36, s60                                // 0000000049B8: 85143C24
	v_readlane_b32 s82, v3, 1                                  // 0000000049BC: D2890052 00010303
	s_and_b32 s82, s82, 0xffffff                               // 0000000049C4: 8652FF52 00FFFFFF
	s_cmp_lt_u32 s82, s66                                      // 0000000049CC: BF0A4252
	s_cselect_b32 s21, s36, s60                                // 0000000049D0: 85153C24
	s_mov_b64 exec, s[20:21]                                   // 0000000049D4: BEFE0114
	global_atomic_add_f32 v6, v46, s[8:9] offset:8             // 0000000049D8: DD348008 00082E06
	global_atomic_add_f32 v6, v50, s[8:9] offset:264           // 0000000049E0: DD348108 00083206
	s_mov_b64 exec, s[36:37]                                   // 0000000049E8: BEFE0124
	v_mov_b32_e32 v6, v33                                      // 0000000049EC: 7E0C0321
	s_mov_b64 s[60:61], 0                                      // 0000000049F0: BEBC0180
	v_readlane_b32 s82, v3, 2                                  // 0000000049F4: D2890052 00010503
	s_and_b32 s82, s82, 0xffffff                               // 0000000049FC: 8652FF52 00FFFFFF
	s_cmp_lt_u32 s82, s66                                      // 000000004A04: BF0A4252
	s_cselect_b32 s20, s36, s60                                // 000000004A08: 85143C24
	v_readlane_b32 s82, v3, 3                                  // 000000004A0C: D2890052 00010703
	s_and_b32 s82, s82, 0xffffff                               // 000000004A14: 8652FF52 00FFFFFF
	s_cmp_lt_u32 s82, s66                                      // 000000004A1C: BF0A4252
	s_cselect_b32 s21, s36, s60                                // 000000004A20: 85153C24
	s_mov_b64 exec, s[20:21]                                   // 000000004A24: BEFE0114
	global_atomic_add_f32 v6, v47, s[8:9] offset:8             // 000000004A28: DD348008 00082F06
	global_atomic_add_f32 v6, v51, s[8:9] offset:264           // 000000004A30: DD348108 00083306
	s_mov_b64 exec, s[36:37]                                   // 000000004A38: BEFE0124
	s_branch label_0813                                        // 000000004A3C: BF820000

0000000000004a40 <label_0813>:
	s_waitcnt vmcnt(0) expcnt(0) lgkmcnt(0)                    // 000000004A40: BF8C0000
	s_endpgm                                                   // 000000004A44: BF810000
